;; amdgpu-corpus repo=ROCm/composable_kernel kind=compiled arch=gfx950 opt=O3
	.amdgcn_target "amdgcn-amd-amdhsa--gfx950"
	.amdhsa_code_object_version 6
	.section	.text._ZN2ckL12flush_icacheEv,"axG",@progbits,_ZN2ckL12flush_icacheEv,comdat
	.globl	_ZN2ckL12flush_icacheEv         ; -- Begin function _ZN2ckL12flush_icacheEv
	.p2align	8
	.type	_ZN2ckL12flush_icacheEv,@function
_ZN2ckL12flush_icacheEv:                ; @_ZN2ckL12flush_icacheEv
; %bb.0:
	;;#ASMSTART
	s_icache_inv 
	s_nop 0 
	s_nop 0 
	;; [unrolled: 1-line block ×16, first 2 shown]
	
	;;#ASMEND
	s_endpgm
	.section	.rodata,"a",@progbits
	.p2align	6, 0x0
	.amdhsa_kernel _ZN2ckL12flush_icacheEv
		.amdhsa_group_segment_fixed_size 0
		.amdhsa_private_segment_fixed_size 0
		.amdhsa_kernarg_size 0
		.amdhsa_user_sgpr_count 0
		.amdhsa_user_sgpr_dispatch_ptr 0
		.amdhsa_user_sgpr_queue_ptr 0
		.amdhsa_user_sgpr_kernarg_segment_ptr 0
		.amdhsa_user_sgpr_dispatch_id 0
		.amdhsa_user_sgpr_kernarg_preload_length 0
		.amdhsa_user_sgpr_kernarg_preload_offset 0
		.amdhsa_user_sgpr_private_segment_size 0
		.amdhsa_uses_dynamic_stack 0
		.amdhsa_enable_private_segment 0
		.amdhsa_system_sgpr_workgroup_id_x 1
		.amdhsa_system_sgpr_workgroup_id_y 0
		.amdhsa_system_sgpr_workgroup_id_z 0
		.amdhsa_system_sgpr_workgroup_info 0
		.amdhsa_system_vgpr_workitem_id 0
		.amdhsa_next_free_vgpr 1
		.amdhsa_next_free_sgpr 0
		.amdhsa_accum_offset 4
		.amdhsa_reserve_vcc 0
		.amdhsa_float_round_mode_32 0
		.amdhsa_float_round_mode_16_64 0
		.amdhsa_float_denorm_mode_32 3
		.amdhsa_float_denorm_mode_16_64 3
		.amdhsa_dx10_clamp 1
		.amdhsa_ieee_mode 1
		.amdhsa_fp16_overflow 0
		.amdhsa_tg_split 0
		.amdhsa_exception_fp_ieee_invalid_op 0
		.amdhsa_exception_fp_denorm_src 0
		.amdhsa_exception_fp_ieee_div_zero 0
		.amdhsa_exception_fp_ieee_overflow 0
		.amdhsa_exception_fp_ieee_underflow 0
		.amdhsa_exception_fp_ieee_inexact 0
		.amdhsa_exception_int_div_zero 0
	.end_amdhsa_kernel
	.section	.text._ZN2ckL12flush_icacheEv,"axG",@progbits,_ZN2ckL12flush_icacheEv,comdat
.Lfunc_end0:
	.size	_ZN2ckL12flush_icacheEv, .Lfunc_end0-_ZN2ckL12flush_icacheEv
                                        ; -- End function
	.set _ZN2ckL12flush_icacheEv.num_vgpr, 0
	.set _ZN2ckL12flush_icacheEv.num_agpr, 0
	.set _ZN2ckL12flush_icacheEv.numbered_sgpr, 0
	.set _ZN2ckL12flush_icacheEv.num_named_barrier, 0
	.set _ZN2ckL12flush_icacheEv.private_seg_size, 0
	.set _ZN2ckL12flush_icacheEv.uses_vcc, 0
	.set _ZN2ckL12flush_icacheEv.uses_flat_scratch, 0
	.set _ZN2ckL12flush_icacheEv.has_dyn_sized_stack, 0
	.set _ZN2ckL12flush_icacheEv.has_recursion, 0
	.set _ZN2ckL12flush_icacheEv.has_indirect_call, 0
	.section	.AMDGPU.csdata,"",@progbits
; Kernel info:
; codeLenInByte = 276
; TotalNumSgprs: 6
; NumVgprs: 0
; NumAgprs: 0
; TotalNumVgprs: 0
; ScratchSize: 0
; MemoryBound: 0
; FloatMode: 240
; IeeeMode: 1
; LDSByteSize: 0 bytes/workgroup (compile time only)
; SGPRBlocks: 0
; VGPRBlocks: 0
; NumSGPRsForWavesPerEU: 6
; NumVGPRsForWavesPerEU: 1
; AccumOffset: 4
; Occupancy: 8
; WaveLimiterHint : 0
; COMPUTE_PGM_RSRC2:SCRATCH_EN: 0
; COMPUTE_PGM_RSRC2:USER_SGPR: 0
; COMPUTE_PGM_RSRC2:TRAP_HANDLER: 0
; COMPUTE_PGM_RSRC2:TGID_X_EN: 1
; COMPUTE_PGM_RSRC2:TGID_Y_EN: 0
; COMPUTE_PGM_RSRC2:TGID_Z_EN: 0
; COMPUTE_PGM_RSRC2:TIDIG_COMP_CNT: 0
; COMPUTE_PGM_RSRC3_GFX90A:ACCUM_OFFSET: 0
; COMPUTE_PGM_RSRC3_GFX90A:TG_SPLIT: 0
	.section	.text._ZN2ck27kernel_gemm_xdl_cshuffle_v3INS_28GridwiseGemm_xdl_cshuffle_v3INS_13tensor_layout4gemm8RowMajorENS3_11ColumnMajorES4_NS_9f8_fnuz_tENS_7pk_i4_tEfDF16_DF16_NS_16tensor_operation12element_wise11PassThroughESA_SA_LNS8_6device18GemmSpecializationE0ELi256ELi128ELi128ELi128ELi16ELi16ELi16ELi16ELi4ELi4ENS_8SequenceIJLi8ELi32ELi1EEEENSD_IJLi1ELi0ELi2EEEESF_Li2ELi16ELi16ELb0ELi0ENSD_IJLi4ELi64ELi1EEEESF_SF_Li2ELi16ELi16ELb0ELi0ELi1ELi1ENSD_IJLi1ELi32ELi1ELi8EEEELi4ELNS_26BlockGemmPipelineSchedulerE1ELNS_24BlockGemmPipelineVersionE1ES6_S6_Lb0ELb1ELb0ELi0ELb0EEELb1ELNS_25InMemoryDataOperationEnumE1ELi2ELNS_10TailNumberE2EEEvNT_8ArgumentE,"axG",@progbits,_ZN2ck27kernel_gemm_xdl_cshuffle_v3INS_28GridwiseGemm_xdl_cshuffle_v3INS_13tensor_layout4gemm8RowMajorENS3_11ColumnMajorES4_NS_9f8_fnuz_tENS_7pk_i4_tEfDF16_DF16_NS_16tensor_operation12element_wise11PassThroughESA_SA_LNS8_6device18GemmSpecializationE0ELi256ELi128ELi128ELi128ELi16ELi16ELi16ELi16ELi4ELi4ENS_8SequenceIJLi8ELi32ELi1EEEENSD_IJLi1ELi0ELi2EEEESF_Li2ELi16ELi16ELb0ELi0ENSD_IJLi4ELi64ELi1EEEESF_SF_Li2ELi16ELi16ELb0ELi0ELi1ELi1ENSD_IJLi1ELi32ELi1ELi8EEEELi4ELNS_26BlockGemmPipelineSchedulerE1ELNS_24BlockGemmPipelineVersionE1ES6_S6_Lb0ELb1ELb0ELi0ELb0EEELb1ELNS_25InMemoryDataOperationEnumE1ELi2ELNS_10TailNumberE2EEEvNT_8ArgumentE,comdat
	.protected	_ZN2ck27kernel_gemm_xdl_cshuffle_v3INS_28GridwiseGemm_xdl_cshuffle_v3INS_13tensor_layout4gemm8RowMajorENS3_11ColumnMajorES4_NS_9f8_fnuz_tENS_7pk_i4_tEfDF16_DF16_NS_16tensor_operation12element_wise11PassThroughESA_SA_LNS8_6device18GemmSpecializationE0ELi256ELi128ELi128ELi128ELi16ELi16ELi16ELi16ELi4ELi4ENS_8SequenceIJLi8ELi32ELi1EEEENSD_IJLi1ELi0ELi2EEEESF_Li2ELi16ELi16ELb0ELi0ENSD_IJLi4ELi64ELi1EEEESF_SF_Li2ELi16ELi16ELb0ELi0ELi1ELi1ENSD_IJLi1ELi32ELi1ELi8EEEELi4ELNS_26BlockGemmPipelineSchedulerE1ELNS_24BlockGemmPipelineVersionE1ES6_S6_Lb0ELb1ELb0ELi0ELb0EEELb1ELNS_25InMemoryDataOperationEnumE1ELi2ELNS_10TailNumberE2EEEvNT_8ArgumentE ; -- Begin function _ZN2ck27kernel_gemm_xdl_cshuffle_v3INS_28GridwiseGemm_xdl_cshuffle_v3INS_13tensor_layout4gemm8RowMajorENS3_11ColumnMajorES4_NS_9f8_fnuz_tENS_7pk_i4_tEfDF16_DF16_NS_16tensor_operation12element_wise11PassThroughESA_SA_LNS8_6device18GemmSpecializationE0ELi256ELi128ELi128ELi128ELi16ELi16ELi16ELi16ELi4ELi4ENS_8SequenceIJLi8ELi32ELi1EEEENSD_IJLi1ELi0ELi2EEEESF_Li2ELi16ELi16ELb0ELi0ENSD_IJLi4ELi64ELi1EEEESF_SF_Li2ELi16ELi16ELb0ELi0ELi1ELi1ENSD_IJLi1ELi32ELi1ELi8EEEELi4ELNS_26BlockGemmPipelineSchedulerE1ELNS_24BlockGemmPipelineVersionE1ES6_S6_Lb0ELb1ELb0ELi0ELb0EEELb1ELNS_25InMemoryDataOperationEnumE1ELi2ELNS_10TailNumberE2EEEvNT_8ArgumentE
	.globl	_ZN2ck27kernel_gemm_xdl_cshuffle_v3INS_28GridwiseGemm_xdl_cshuffle_v3INS_13tensor_layout4gemm8RowMajorENS3_11ColumnMajorES4_NS_9f8_fnuz_tENS_7pk_i4_tEfDF16_DF16_NS_16tensor_operation12element_wise11PassThroughESA_SA_LNS8_6device18GemmSpecializationE0ELi256ELi128ELi128ELi128ELi16ELi16ELi16ELi16ELi4ELi4ENS_8SequenceIJLi8ELi32ELi1EEEENSD_IJLi1ELi0ELi2EEEESF_Li2ELi16ELi16ELb0ELi0ENSD_IJLi4ELi64ELi1EEEESF_SF_Li2ELi16ELi16ELb0ELi0ELi1ELi1ENSD_IJLi1ELi32ELi1ELi8EEEELi4ELNS_26BlockGemmPipelineSchedulerE1ELNS_24BlockGemmPipelineVersionE1ES6_S6_Lb0ELb1ELb0ELi0ELb0EEELb1ELNS_25InMemoryDataOperationEnumE1ELi2ELNS_10TailNumberE2EEEvNT_8ArgumentE
	.p2align	8
	.type	_ZN2ck27kernel_gemm_xdl_cshuffle_v3INS_28GridwiseGemm_xdl_cshuffle_v3INS_13tensor_layout4gemm8RowMajorENS3_11ColumnMajorES4_NS_9f8_fnuz_tENS_7pk_i4_tEfDF16_DF16_NS_16tensor_operation12element_wise11PassThroughESA_SA_LNS8_6device18GemmSpecializationE0ELi256ELi128ELi128ELi128ELi16ELi16ELi16ELi16ELi4ELi4ENS_8SequenceIJLi8ELi32ELi1EEEENSD_IJLi1ELi0ELi2EEEESF_Li2ELi16ELi16ELb0ELi0ENSD_IJLi4ELi64ELi1EEEESF_SF_Li2ELi16ELi16ELb0ELi0ELi1ELi1ENSD_IJLi1ELi32ELi1ELi8EEEELi4ELNS_26BlockGemmPipelineSchedulerE1ELNS_24BlockGemmPipelineVersionE1ES6_S6_Lb0ELb1ELb0ELi0ELb0EEELb1ELNS_25InMemoryDataOperationEnumE1ELi2ELNS_10TailNumberE2EEEvNT_8ArgumentE,@function
_ZN2ck27kernel_gemm_xdl_cshuffle_v3INS_28GridwiseGemm_xdl_cshuffle_v3INS_13tensor_layout4gemm8RowMajorENS3_11ColumnMajorES4_NS_9f8_fnuz_tENS_7pk_i4_tEfDF16_DF16_NS_16tensor_operation12element_wise11PassThroughESA_SA_LNS8_6device18GemmSpecializationE0ELi256ELi128ELi128ELi128ELi16ELi16ELi16ELi16ELi4ELi4ENS_8SequenceIJLi8ELi32ELi1EEEENSD_IJLi1ELi0ELi2EEEESF_Li2ELi16ELi16ELb0ELi0ENSD_IJLi4ELi64ELi1EEEESF_SF_Li2ELi16ELi16ELb0ELi0ELi1ELi1ENSD_IJLi1ELi32ELi1ELi8EEEELi4ELNS_26BlockGemmPipelineSchedulerE1ELNS_24BlockGemmPipelineVersionE1ES6_S6_Lb0ELb1ELb0ELi0ELb0EEELb1ELNS_25InMemoryDataOperationEnumE1ELi2ELNS_10TailNumberE2EEEvNT_8ArgumentE: ; @_ZN2ck27kernel_gemm_xdl_cshuffle_v3INS_28GridwiseGemm_xdl_cshuffle_v3INS_13tensor_layout4gemm8RowMajorENS3_11ColumnMajorES4_NS_9f8_fnuz_tENS_7pk_i4_tEfDF16_DF16_NS_16tensor_operation12element_wise11PassThroughESA_SA_LNS8_6device18GemmSpecializationE0ELi256ELi128ELi128ELi128ELi16ELi16ELi16ELi16ELi4ELi4ENS_8SequenceIJLi8ELi32ELi1EEEENSD_IJLi1ELi0ELi2EEEESF_Li2ELi16ELi16ELb0ELi0ENSD_IJLi4ELi64ELi1EEEESF_SF_Li2ELi16ELi16ELb0ELi0ELi1ELi1ENSD_IJLi1ELi32ELi1ELi8EEEELi4ELNS_26BlockGemmPipelineSchedulerE1ELNS_24BlockGemmPipelineVersionE1ES6_S6_Lb0ELb1ELb0ELi0ELb0EEELb1ELNS_25InMemoryDataOperationEnumE1ELi2ELNS_10TailNumberE2EEEvNT_8ArgumentE
; %bb.0:
	s_load_dwordx8 s[12:19], s[0:1], 0x10
	s_load_dwordx2 s[8:9], s[0:1], 0x60
	s_waitcnt lgkmcnt(0)
	s_load_dword s19, s[0:1], 0x68
	s_load_dword s21, s[0:1], 0x3c
	s_load_dwordx4 s[4:7], s[0:1], 0x50
	s_cmp_gt_i32 s18, 1
	s_cselect_b64 s[10:11], -1, 0
	s_waitcnt lgkmcnt(0)
	s_bitcmp1_b32 s19, 0
	s_cselect_b64 s[22:23], -1, 0
	s_and_b64 s[10:11], s[10:11], s[22:23]
	s_andn2_b64 vcc, exec, s[10:11]
	s_mov_b64 s[10:11], 0
	s_cbranch_vccnz .LBB1_2
; %bb.1:
	s_mul_i32 s10, s12, s3
	s_mul_i32 s10, s10, s13
	s_ashr_i32 s11, s10, 31
.LBB1_2:
	s_load_dword s23, s[0:1], 0x34
	s_add_i32 s19, s12, -1
	s_cmpk_lt_u32 s19, 0x80
	s_mov_b32 s20, 0
	s_cbranch_scc1 .LBB1_6
; %bb.3:
	s_add_i32 s0, s13, -1
	s_cmpk_lt_u32 s0, 0x80
	s_mov_b32 s0, 0
	s_cbranch_scc1 .LBB1_10
; %bb.4:
	s_add_i32 s0, s12, 0x7f
	s_ashr_i32 s1, s0, 31
	s_lshr_b32 s1, s1, 25
	s_add_i32 s0, s0, s1
	s_ashr_i32 s24, s0, 7
	s_add_i32 s0, s13, 0x7f
	s_ashr_i32 s1, s0, 31
	s_lshr_b32 s1, s1, 25
	s_add_i32 s0, s0, s1
	s_ashr_i32 s22, s0, 7
	s_mul_i32 s0, s22, s24
	s_add_i32 s1, s0, 7
	s_ashr_i32 s25, s1, 31
	s_lshr_b32 s25, s25, 29
	s_add_i32 s1, s1, s25
	s_ashr_i32 s25, s1, 3
	s_and_b32 s1, s1, -8
	s_sub_i32 s26, s0, s1
	s_ashr_i32 s0, s2, 31
	s_lshr_b32 s0, s0, 29
	s_add_i32 s28, s2, s0
	s_and_b32 s0, s28, -8
	s_add_i32 s26, s26, 8
	s_sub_i32 s27, s2, s0
	s_cmp_gt_i32 s27, s26
	s_cbranch_scc1 .LBB1_7
; %bb.5:
	s_mul_i32 s2, s25, s27
	s_ashr_i32 s0, s28, 3
	s_cbranch_execz .LBB1_8
	s_branch .LBB1_9
.LBB1_6:
	s_mov_b32 s22, 0
	s_branch .LBB1_11
.LBB1_7:
                                        ; implicit-def: $sgpr2
	s_ashr_i32 s0, s28, 3
.LBB1_8:
	s_add_i32 s1, s25, -1
	s_mul_i32 s1, s1, s27
	s_add_i32 s2, s26, s1
.LBB1_9:
	s_abs_i32 s1, s22
	v_cvt_f32_u32_e32 v1, s1
	s_sub_i32 s26, 0, s1
	s_add_i32 s0, s2, s0
	s_abs_i32 s25, s0
	v_rcp_iflag_f32_e32 v1, v1
	s_xor_b32 s2, s0, s22
	s_ashr_i32 s2, s2, 31
	v_mul_f32_e32 v1, 0x4f7ffffe, v1
	v_cvt_u32_f32_e32 v1, v1
	s_nop 0
	v_readfirstlane_b32 s27, v1
	s_mul_i32 s26, s26, s27
	s_mul_hi_u32 s26, s27, s26
	s_add_i32 s27, s27, s26
	s_mul_hi_u32 s26, s25, s27
	s_mul_i32 s27, s26, s1
	s_sub_i32 s25, s25, s27
	s_add_i32 s28, s26, 1
	s_sub_i32 s27, s25, s1
	s_cmp_ge_u32 s25, s1
	s_cselect_b32 s26, s28, s26
	s_cselect_b32 s25, s27, s25
	s_add_i32 s27, s26, 1
	s_cmp_ge_u32 s25, s1
	s_cselect_b32 s1, s27, s26
	s_xor_b32 s1, s1, s2
	s_lshr_b32 s25, s24, 30
	s_sub_i32 s1, s1, s2
	s_add_i32 s25, s24, s25
	s_mul_i32 s2, s1, s22
	s_sub_i32 s0, s0, s2
	s_and_b32 s2, s25, -4
	s_sub_i32 s24, s24, s2
	s_cmp_ge_i32 s1, s2
	s_cselect_b32 s2, s24, 4
	s_abs_i32 s25, s2
	v_cvt_f32_u32_e32 v1, s25
	s_ashr_i32 s24, s1, 31
	s_lshr_b32 s24, s24, 30
	s_add_i32 s24, s1, s24
	v_rcp_iflag_f32_e32 v1, v1
	s_and_b32 s24, s24, -4
	s_sub_i32 s24, s1, s24
	s_sub_i32 s27, 0, s25
	v_mul_f32_e32 v1, 0x4f7ffffe, v1
	v_cvt_u32_f32_e32 v1, v1
	s_mul_i32 s22, s24, s22
	s_add_i32 s22, s22, s0
	s_abs_i32 s26, s22
	v_readfirstlane_b32 s28, v1
	s_mul_i32 s27, s27, s28
	s_mul_hi_u32 s27, s28, s27
	s_add_i32 s28, s28, s27
	s_mul_hi_u32 s27, s26, s28
	s_mul_i32 s28, s27, s25
	s_xor_b32 s0, s22, s2
	s_sub_i32 s26, s26, s28
	s_ashr_i32 s0, s0, 31
	s_add_i32 s28, s27, 1
	s_sub_i32 s29, s26, s25
	s_cmp_ge_u32 s26, s25
	s_cselect_b32 s27, s28, s27
	s_cselect_b32 s26, s29, s26
	s_add_i32 s28, s27, 1
	s_cmp_ge_u32 s26, s25
	s_cselect_b32 s25, s28, s27
	s_xor_b32 s25, s25, s0
	s_sub_i32 s0, s25, s0
	s_mul_i32 s2, s0, s2
	s_sub_i32 s2, s22, s2
	s_add_i32 s2, s2, s1
	s_sub_i32 s2, s2, s24
.LBB1_10:
	s_mov_b32 s22, s2
	s_mov_b32 s2, s0
.LBB1_11:
	s_waitcnt lgkmcnt(0)
	s_mul_i32 s0, s23, s3
	s_add_i32 s18, s18, -1
	s_mul_i32 s1, s0, s13
	s_mul_i32 s24, s18, s23
	s_lshr_b32 s1, s1, 1
	s_sub_i32 s14, s14, s24
	s_cmp_lt_u32 s3, s18
	s_cselect_b32 s3, s23, s14
	s_ashr_i32 s14, s0, 31
	s_add_u32 s0, s4, s0
	s_addc_u32 s5, s5, s14
	s_add_u32 s4, s6, s1
	s_addc_u32 s7, s7, 0
	s_ashr_i32 s6, s16, 31
	s_lshl_b32 s14, s2, 7
	s_ashr_i32 s2, s21, 31
	s_lshr_b32 s6, s6, 25
	v_lshrrev_b32_e32 v27, 1, v0
	s_lshr_b32 s2, s2, 29
	s_add_i32 s6, s16, s6
	v_and_b32_e32 v1, 0x7c, v27
	s_add_i32 s21, s21, s2
	s_ashr_i32 s6, s6, 7
	s_lshl_b32 s16, s13, 7
	v_and_b32_e32 v26, 7, v0
	v_lshl_or_b32 v28, s22, 7, v1
	s_ashr_i32 s23, s21, 3
	s_mul_i32 s1, s19, s15
	v_lshlrev_b32_e32 v117, 4, v26
	v_mul_lo_u32 v118, v28, s15
	s_add_u32 s2, 0, 0
	v_add_u32_e32 v6, v118, v117
	s_addc_u32 s2, s3, s1
	s_and_b32 s1, s5, 0xffff
	s_mov_b32 s3, 0x20000
	buffer_load_dwordx4 v[2:5], v6, s[0:3], 0 offen
	v_add_u32_e32 v10, s15, v6
	buffer_load_dwordx4 v[6:9], v10, s[0:3], 0 offen
	v_lshlrev_b32_e32 v29, 1, v0
	v_and_b32_e32 v119, 6, v29
	v_and_b32_e32 v11, 0x7e, v27
	v_add_u32_e32 v16, s15, v10
	v_or_b32_e32 v14, s14, v11
	v_lshlrev_b32_e32 v15, 4, v119
	buffer_load_dwordx4 v[10:13], v16, s[0:3], 0 offen
	v_add_u32_e32 v30, s15, v16
	v_or_b32_e32 v21, 1, v119
	v_lshl_or_b32 v20, v14, 7, v15
	buffer_load_dwordx4 v[14:17], v30, s[0:3], 0 offen
	v_sub_u32_e32 v22, v21, v119
	s_mul_i32 s5, s13, s6
	v_lshlrev_b32_e32 v31, 4, v22
	v_ashrrev_i32_e32 v18, 1, v20
	s_lshl_b32 s6, s5, 6
	s_and_b32 s5, s7, 0xffff
	s_mov_b32 s7, s3
	v_add_u32_e32 v24, v20, v31
	v_sub_u32_e32 v20, v119, v21
	buffer_load_dwordx2 v[18:19], v18, s[4:7], 0 offen
	v_add_u32_e32 v22, 0x80, v24
	v_lshlrev_b32_e32 v32, 4, v20
	v_add_u32_e32 v33, v22, v32
	v_ashrrev_i32_e32 v20, 1, v33
	v_ashrrev_i32_e32 v22, 1, v22
	buffer_load_dwordx2 v[20:21], v20, s[4:7], 0 offen
	v_ashrrev_i32_e32 v24, 1, v24
	buffer_load_dwordx2 v[22:23], v22, s[4:7], 0 offen
	v_bitop3_b32 v35, v27, v26, 4 bitop3:0x6c
	buffer_load_dwordx2 v[24:25], v24, s[4:7], 0 offen
	v_lshlrev_b32_e32 v1, 7, v1
	v_and_b32_e32 v34, 4, v27
	v_lshl_or_b32 v36, v35, 4, v1
	v_lshrrev_b32_e32 v115, 2, v0
	v_lshlrev_b32_e32 v37, 1, v119
	v_bitop3_b32 v39, v37, v115, 15 bitop3:0x78
	v_lshlrev_b32_e32 v1, 8, v115
	v_bfe_u32 v38, v0, 2, 4
	v_lshl_or_b32 v148, v39, 4, v1
	s_movk_i32 s21, 0xff00
	v_or3_b32 v126, 0, 0, 0
	s_add_i32 s26, s16, 0xffffff80
	v_add_u32_e32 v33, s26, v33
	v_and_b32_e32 v114, 15, v0
	v_and_b32_e32 v29, 0x60, v29
	v_lshrrev_b32_e32 v1, 3, v0
	v_and_or_b32 v40, v1, 16, v114
	v_lshrrev_b32_e32 v41, 4, v29
	v_bitop3_b32 v42, v41, v0, 7 bitop3:0x78
	v_lshlrev_b32_e32 v40, 7, v40
	v_and_b32_e32 v116, 16, v115
	v_and_b32_e32 v43, 1, v0
	v_lshrrev_b32_e32 v29, 3, v29
	v_lshl_or_b32 v120, v42, 4, v40
	v_or_b32_e32 v40, v116, v114
	v_or_b32_e32 v44, v29, v43
	v_lshrrev_b32_e32 v40, 1, v40
	v_bitop3_b32 v29, v40, v29, v43 bitop3:0x1e
	v_lshlrev_b32_e32 v43, 8, v40
	v_lshl_or_b32 v43, v29, 4, v43
	s_mul_i32 s18, s15, -3
	s_addk_i32 s18, 0x80
	v_add_u32_e32 v30, s18, v30
	s_movk_i32 s18, 0xff80
	s_add_i32 s23, s23, -2
	v_lshrrev_b32_e32 v134, 1, v43
	v_mov_b32_e32 v113, 2
	v_mov_b32_e32 v144, 16
	v_or_b32_e32 v145, 16, v119
	v_or_b32_e32 v146, 17, v119
	v_add_u32_e32 v147, s15, v118
	s_waitcnt vmcnt(7)
	ds_write_b128 v36, v[2:5]
	v_bitop3_b32 v2, v34, v26, 1 bitop3:0x36
	v_sub_u32_e32 v3, v2, v35
	v_lshlrev_b32_e32 v121, 4, v3
	v_add_u32_e32 v122, 0x80, v121
	v_add_u32_e32 v3, v122, v36
	s_waitcnt vmcnt(6)
	ds_write_b128 v3, v[6:9]
	v_bitop3_b32 v6, v34, v26, 2 bitop3:0x36
	v_sub_u32_e32 v2, v6, v2
	v_mov_b32_e32 v7, 0x80
	v_lshl_add_u32 v123, v2, 4, v7
	v_add_u32_e32 v2, v123, v3
	v_bitop3_b32 v3, v34, v26, 3 bitop3:0x36
	v_sub_u32_e32 v4, v3, v6
	v_lshlrev_b32_e32 v4, 4, v4
	s_waitcnt vmcnt(5)
	ds_write_b128 v2, v[10:13]
	v_add_u32_e32 v2, v2, v4
	v_add_u32_e32 v8, v122, v123
	s_waitcnt vmcnt(4)
	ds_write_b128 v2, v[14:17] offset:128
	v_sub_u32_e32 v2, v35, v3
	v_add3_u32 v5, v8, v36, v4
	v_lshlrev_b32_e32 v2, 4, v2
	v_add3_u32 v124, v5, v2, s21
	v_lshrrev_b32_e32 v2, 1, v148
	v_bitop3_b32 v3, v37, v38, 1 bitop3:0x36
	s_waitcnt vmcnt(3)
	ds_write_b64 v2, v[18:19] offset:16384
	v_sub_u32_e32 v2, v3, v39
	v_lshlrev_b32_e32 v125, 4, v2
	v_add_u32_e32 v2, v125, v148
	v_ashrrev_i32_e32 v2, 1, v2
	v_bitop3_b32 v9, v37, v38, 3 bitop3:0x36
	s_waitcnt vmcnt(1)
	v_and_b32_e32 v4, 0xffff0000, v23
	v_and_b32_e32 v5, 0xff, v23
	;; [unrolled: 1-line block ×3, first 2 shown]
	ds_write_b64 v2, v[20:21] offset:16384
	v_sub_u32_e32 v2, v9, v39
	v_or3_b32 v4, v11, v4, v5
	v_and_b32_e32 v11, 0xff0000, v22
	v_and_b32_e32 v12, 0xff000000, v22
	v_lshl_add_u32 v10, v2, 4, v148
	v_and_b32_e32 v13, 0xff00, v22
	v_or3_b32 v5, v4, 0, 0
	v_or3_b32 v4, v126, v12, v11
	v_and_b32_e32 v11, 0xff, v22
	v_or3_b32 v4, v4, v13, v11
	v_ashrrev_i32_e32 v10, 1, v10
	ds_write_b64 v10, v[4:5] offset:16384
	v_add_u32_e32 v10, v33, v31
	v_lshrrev_b32_e32 v11, 31, v10
	v_bitop3_b32 v4, v37, v38, 2 bitop3:0x36
	v_add_u32_e32 v11, v10, v11
	v_add_u32_e32 v10, 0x80, v10
	v_sub_u32_e32 v5, v4, v39
	v_lshrrev_b32_e32 v12, 31, v10
	v_lshl_add_u32 v5, v5, 4, v148
	v_add_u32_e32 v12, v10, v12
	v_add_u32_e32 v10, v10, v32
	v_ashrrev_i32_e32 v5, 1, v5
	v_lshrrev_b32_e32 v13, 31, v10
	s_waitcnt vmcnt(0)
	ds_write_b64 v5, v[24:25] offset:16384
	v_ashrrev_i32_e32 v5, 1, v33
	v_add_u32_e32 v13, v10, v13
	v_ashrrev_i32_e32 v11, 1, v11
	v_ashrrev_i32_e32 v12, 1, v12
	;; [unrolled: 1-line block ×3, first 2 shown]
	buffer_load_dwordx2 v[100:101], v5, s[4:7], 0 offen
	buffer_load_dwordx2 v[98:99], v11, s[4:7], 0 offen
	;; [unrolled: 1-line block ×4, first 2 shown]
	v_or_b32_e32 v5, 1, v41
	v_sub_u32_e32 v5, v5, v41
	v_lshl_add_u32 v5, v5, 1, v44
	v_xor_b32_e32 v5, v5, v40
	v_sub_u32_e32 v5, v5, v29
	v_lshlrev_b32_e32 v5, 4, v5
	v_add_u32_e32 v11, v5, v43
	v_ashrrev_i32_e32 v133, 1, v11
	v_or_b32_e32 v11, 0x1000, v43
	v_lshrrev_b32_e32 v132, 1, v11
	v_add_u32_e32 v11, v5, v11
	v_ashrrev_i32_e32 v131, 1, v11
	v_or_b32_e32 v11, 0x2000, v43
	v_lshrrev_b32_e32 v130, 1, v11
	v_add_u32_e32 v11, v5, v11
	v_ashrrev_i32_e32 v129, 1, v11
	v_or_b32_e32 v11, 0x3000, v43
	v_add_u32_e32 v5, v5, v11
	v_ashrrev_i32_e32 v127, 1, v5
	v_or_b32_e32 v5, 3, v27
	v_bitop3_b32 v5, v5, 7, v0 bitop3:0x48
	v_sub_u32_e32 v3, v9, v3
	v_sub_u32_e32 v6, v5, v6
	v_lshlrev_b32_e32 v137, 4, v3
	v_sub_u32_e32 v3, v4, v9
	v_lshl_add_u32 v135, v6, 4, v7
	v_sub_u32_e32 v5, v35, v5
	v_mov_b32_e32 v6, 0xfffffe80
	v_lshlrev_b32_e32 v138, 4, v3
	v_add_u32_e32 v3, s15, v30
	v_lshl_add_u32 v136, v5, 4, v6
	v_add_u32_e32 v5, s15, v3
	v_add_u32_e32 v6, s15, v5
	buffer_load_dwordx4 v[66:69], v30, s[0:3], 0 offen
	buffer_load_dwordx4 v[70:73], v3, s[0:3], 0 offen
	;; [unrolled: 1-line block ×4, first 2 shown]
	v_sub_u32_e32 v3, v39, v4
	v_add_u32_e32 v108, s26, v10
	v_bitop3_b32 v10, v41, v26, 1 bitop3:0x36
	v_lshlrev_b32_e32 v140, 4, v3
	v_add3_u32 v3, v8, v135, v136
	v_sub_u32_e32 v10, v10, v42
	v_add_u32_e32 v141, v3, v3
	v_or_b32_e32 v3, 3, v28
	v_mov_b32_e32 v2, 0
	v_lshlrev_b32_e32 v10, 4, v10
	v_mul_lo_u32 v142, s15, v3
	v_or_b32_e32 v3, 2, v28
	s_mov_b32 s21, 0xff00
	v_lshrrev_b32_e32 v128, 1, v11
	v_mul_lo_u32 v143, s15, v3
	v_add_u32_e32 v139, v10, v120
	v_mov_b32_e32 v3, v2
	v_mov_b32_e32 v4, v2
	;; [unrolled: 1-line block ×63, first 2 shown]
.LBB1_12:                               ; =>This Inner Loop Header: Depth=1
	s_waitcnt lgkmcnt(0)
	s_barrier
	ds_read_b128 v[82:85], v120
	ds_read_b128 v[90:93], v120 offset:4096
	ds_read_b128 v[86:89], v139
	ds_read_b64 v[106:107], v134 offset:16384
	ds_read_b128 v[94:97], v139 offset:4096
	ds_read_b128 v[154:157], v139 offset:8192
	;; [unrolled: 1-line block ×5, first 2 shown]
	s_waitcnt lgkmcnt(5)
	;;#ASMSTART
	v_cvt_off_f32_i4 v109, v106
v_cvt_off_f32_i4 v110, v106, src0_sel:BYTE_2
v_cvt_pk_fp8_f32 v166, v109, v110
v_cvt_off_f32_i4 v109, v106, src0_sel:BYTE_1
v_cvt_off_f32_i4 v110, v106, src0_sel:BYTE_3
v_cvt_pk_fp8_f32 v167, v109, v110
v_lshrrev_b32 v111, 4, v106
v_cvt_off_f32_i4 v109, v111
v_cvt_off_f32_i4 v110, v111, src0_sel:BYTE_2
v_cvt_pk_fp8_f32 v166, v109, v110, op_sel:[0, 0, 1]
v_cvt_off_f32_i4 v109, v111, src0_sel:BYTE_1
v_cvt_off_f32_i4 v110, v111, src0_sel:BYTE_3
v_cvt_pk_fp8_f32 v167, v109, v110, op_sel:[0, 0, 1]

	;;#ASMEND
	v_add_u32_e32 v198, v117, v118
	;;#ASMSTART
	v_cvt_off_f32_i4 v106, v107
v_cvt_off_f32_i4 v109, v107, src0_sel:BYTE_2
v_cvt_pk_fp8_f32 v168, v106, v109
v_cvt_off_f32_i4 v106, v107, src0_sel:BYTE_1
v_cvt_off_f32_i4 v109, v107, src0_sel:BYTE_3
v_cvt_pk_fp8_f32 v169, v106, v109
v_lshrrev_b32 v110, 4, v107
v_cvt_off_f32_i4 v106, v110
v_cvt_off_f32_i4 v109, v110, src0_sel:BYTE_2
v_cvt_pk_fp8_f32 v168, v106, v109, op_sel:[0, 0, 1]
v_cvt_off_f32_i4 v106, v110, src0_sel:BYTE_1
v_cvt_off_f32_i4 v109, v110, src0_sel:BYTE_3
v_cvt_pk_fp8_f32 v169, v106, v109, op_sel:[0, 0, 1]

	;;#ASMEND
	ds_read_b64 v[106:107], v133 offset:16384
	s_waitcnt lgkmcnt(0)
	;;#ASMSTART
	v_cvt_off_f32_i4 v109, v106
v_cvt_off_f32_i4 v110, v106, src0_sel:BYTE_2
v_cvt_pk_fp8_f32 v170, v109, v110
v_cvt_off_f32_i4 v109, v106, src0_sel:BYTE_1
v_cvt_off_f32_i4 v110, v106, src0_sel:BYTE_3
v_cvt_pk_fp8_f32 v171, v109, v110
v_lshrrev_b32 v111, 4, v106
v_cvt_off_f32_i4 v109, v111
v_cvt_off_f32_i4 v110, v111, src0_sel:BYTE_2
v_cvt_pk_fp8_f32 v170, v109, v110, op_sel:[0, 0, 1]
v_cvt_off_f32_i4 v109, v111, src0_sel:BYTE_1
v_cvt_off_f32_i4 v110, v111, src0_sel:BYTE_3
v_cvt_pk_fp8_f32 v171, v109, v110, op_sel:[0, 0, 1]

	;;#ASMEND
	s_nop 0
	;;#ASMSTART
	v_cvt_off_f32_i4 v106, v107
v_cvt_off_f32_i4 v109, v107, src0_sel:BYTE_2
v_cvt_pk_fp8_f32 v172, v106, v109
v_cvt_off_f32_i4 v106, v107, src0_sel:BYTE_1
v_cvt_off_f32_i4 v109, v107, src0_sel:BYTE_3
v_cvt_pk_fp8_f32 v173, v106, v109
v_lshrrev_b32 v110, 4, v107
v_cvt_off_f32_i4 v106, v110
v_cvt_off_f32_i4 v109, v110, src0_sel:BYTE_2
v_cvt_pk_fp8_f32 v172, v106, v109, op_sel:[0, 0, 1]
v_cvt_off_f32_i4 v106, v110, src0_sel:BYTE_1
v_cvt_off_f32_i4 v109, v110, src0_sel:BYTE_3
v_cvt_pk_fp8_f32 v173, v106, v109, op_sel:[0, 0, 1]

	;;#ASMEND
	ds_read_b64 v[106:107], v132 offset:16384
	s_waitcnt lgkmcnt(0)
	;;#ASMSTART
	v_cvt_off_f32_i4 v109, v106
v_cvt_off_f32_i4 v110, v106, src0_sel:BYTE_2
v_cvt_pk_fp8_f32 v174, v109, v110
v_cvt_off_f32_i4 v109, v106, src0_sel:BYTE_1
v_cvt_off_f32_i4 v110, v106, src0_sel:BYTE_3
v_cvt_pk_fp8_f32 v175, v109, v110
v_lshrrev_b32 v111, 4, v106
v_cvt_off_f32_i4 v109, v111
v_cvt_off_f32_i4 v110, v111, src0_sel:BYTE_2
v_cvt_pk_fp8_f32 v174, v109, v110, op_sel:[0, 0, 1]
v_cvt_off_f32_i4 v109, v111, src0_sel:BYTE_1
v_cvt_off_f32_i4 v110, v111, src0_sel:BYTE_3
v_cvt_pk_fp8_f32 v175, v109, v110, op_sel:[0, 0, 1]

	;;#ASMEND
	s_nop 0
	;; [unrolled: 35-line block ×7, first 2 shown]
	;;#ASMSTART
	v_cvt_off_f32_i4 v106, v107
v_cvt_off_f32_i4 v109, v107, src0_sel:BYTE_2
v_cvt_pk_fp8_f32 v196, v106, v109
v_cvt_off_f32_i4 v106, v107, src0_sel:BYTE_1
v_cvt_off_f32_i4 v109, v107, src0_sel:BYTE_3
v_cvt_pk_fp8_f32 v197, v106, v109
v_lshrrev_b32 v110, 4, v107
v_cvt_off_f32_i4 v106, v110
v_cvt_off_f32_i4 v109, v110, src0_sel:BYTE_2
v_cvt_pk_fp8_f32 v196, v106, v109, op_sel:[0, 0, 1]
v_cvt_off_f32_i4 v106, v110, src0_sel:BYTE_1
v_cvt_off_f32_i4 v109, v110, src0_sel:BYTE_3
v_cvt_pk_fp8_f32 v197, v106, v109, op_sel:[0, 0, 1]

	;;#ASMEND
	; sched_barrier mask(0x00000000)
	s_barrier
	; sched_barrier mask(0x00000000)
	v_mfma_f32_16x16x128_f8f6f4 v[62:65], v[82:89], v[166:173], v[62:65]
	; sched_barrier mask(0x00000000)
	s_setprio 1
	; sched_barrier mask(0x00000000)
	v_mfma_f32_16x16x128_f8f6f4 v[58:61], v[82:89], v[174:181], v[58:61]
	v_mfma_f32_16x16x128_f8f6f4 v[54:57], v[82:89], v[182:189], v[54:57]
	;; [unrolled: 1-line block ×14, first 2 shown]
	; sched_barrier mask(0x00000000)
	s_waitcnt lgkmcnt(0)
	s_barrier
	; sched_barrier mask(0x00000000)
	v_mfma_f32_16x16x128_f8f6f4 v[2:5], v[158:165], v[190:197], v[2:5]
	; sched_barrier mask(0x00000000)
	s_setprio 0
	; sched_barrier mask(0x00000000)
	s_waitcnt vmcnt(3)
	ds_write_b128 v124, v[66:69]
	v_add_u32_e32 v66, v124, v121
	v_add_u32_e64 v186, 2, s20
	v_sub_u32_e32 v68, v146, v144
	s_waitcnt vmcnt(2)
	ds_write_b128 v66, v[70:73] offset:128
	v_sub_u32_e32 v69, v68, v119
	v_sub_u32_e32 v70, v186, v113
	v_mul_lo_u32 v70, v70, s16
	v_lshlrev_b32_e32 v69, 4, v69
	v_add3_u32 v69, v70, v108, v69
	v_lshrrev_b32_e32 v70, 31, v69
	v_add_u32_e32 v70, v69, v70
	v_add_u32_e32 v69, 0x80, v69
	v_sub_u32_e32 v68, v119, v68
	v_add_u32_e32 v66, v66, v123
	v_lshrrev_b32_e32 v67, 31, v108
	v_lshl_add_u32 v187, v68, 4, v69
	v_add_u32_e32 v191, v66, v135
	v_add_u32_e32 v67, v108, v67
	v_lshrrev_b32_e32 v71, 31, v69
	v_lshrrev_b32_e32 v68, 31, v187
	s_waitcnt vmcnt(1)
	ds_write_b128 v66, v[74:77] offset:128
	s_waitcnt vmcnt(0)
	ds_write_b128 v191, v[78:81] offset:128
	v_add_u32_e32 v193, v117, v143
	v_ashrrev_i32_e32 v67, 1, v67
	v_add_u32_e32 v71, v69, v71
	v_add_u32_e32 v68, v187, v68
	;; [unrolled: 1-line block ×3, first 2 shown]
	buffer_load_dwordx4 v[94:97], v198, s[0:3], 0 offen offset:256
	buffer_load_dwordx4 v[86:89], v192, s[0:3], 0 offen offset:256
	v_add_u32_e32 v194, v117, v142
	buffer_load_dwordx4 v[90:93], v193, s[0:3], 0 offen offset:256
	buffer_load_dwordx4 v[82:85], v194, s[0:3], 0 offen offset:256
	v_ashrrev_i32_e32 v70, 1, v70
	v_ashrrev_i32_e32 v71, 1, v71
	;; [unrolled: 1-line block ×3, first 2 shown]
	buffer_load_dwordx2 v[110:111], v67, s[4:7], 0 offen
	buffer_load_dwordx2 v[106:107], v70, s[4:7], 0 offen
	;; [unrolled: 1-line block ×4, first 2 shown]
	v_lshrrev_b32_e32 v66, 31, v148
	v_add_u32_e32 v66, v148, v66
	v_ashrrev_i32_e32 v66, 1, v66
	ds_write_b64 v66, v[100:101] offset:16384
	v_add_u32_e32 v66, v148, v125
	v_lshrrev_b32_e32 v67, 31, v66
	v_add_u32_e32 v67, v66, v67
	v_ashrrev_i32_e32 v67, 1, v67
	v_add_u32_e32 v66, v66, v137
	ds_write_b64 v67, v[104:105] offset:16384
	v_lshrrev_b32_e32 v67, 31, v66
	v_add_u32_e32 v182, v66, v138
	v_add_u32_e32 v67, v66, v67
	v_lshrrev_b32_e32 v66, 31, v182
	v_add_u32_e32 v66, v182, v66
	v_ashrrev_i32_e32 v67, 1, v67
	v_ashrrev_i32_e32 v66, 1, v66
	ds_write_b64 v67, v[102:103] offset:16384
	ds_write_b64 v66, v[98:99] offset:16384
	s_waitcnt lgkmcnt(0)
	s_barrier
	ds_read_b128 v[66:69], v120
	ds_read_b128 v[74:77], v120 offset:4096
	ds_read_b128 v[70:73], v139
	ds_read_b64 v[160:161], v134 offset:16384
	ds_read_b128 v[78:81], v139 offset:4096
	ds_read_b128 v[102:105], v139 offset:8192
	;; [unrolled: 1-line block ×5, first 2 shown]
	s_waitcnt lgkmcnt(5)
	;;#ASMSTART
	v_cvt_off_f32_i4 v158, v160
v_cvt_off_f32_i4 v159, v160, src0_sel:BYTE_2
v_cvt_pk_fp8_f32 v156, v158, v159
v_cvt_off_f32_i4 v158, v160, src0_sel:BYTE_1
v_cvt_off_f32_i4 v159, v160, src0_sel:BYTE_3
v_cvt_pk_fp8_f32 v157, v158, v159
v_lshrrev_b32 v162, 4, v160
v_cvt_off_f32_i4 v158, v162
v_cvt_off_f32_i4 v159, v162, src0_sel:BYTE_2
v_cvt_pk_fp8_f32 v156, v158, v159, op_sel:[0, 0, 1]
v_cvt_off_f32_i4 v158, v162, src0_sel:BYTE_1
v_cvt_off_f32_i4 v159, v162, src0_sel:BYTE_3
v_cvt_pk_fp8_f32 v157, v158, v159, op_sel:[0, 0, 1]

	;;#ASMEND
	v_add_u32_e32 v195, v182, v140
	;;#ASMSTART
	v_cvt_off_f32_i4 v160, v161
v_cvt_off_f32_i4 v162, v161, src0_sel:BYTE_2
v_cvt_pk_fp8_f32 v158, v160, v162
v_cvt_off_f32_i4 v160, v161, src0_sel:BYTE_1
v_cvt_off_f32_i4 v162, v161, src0_sel:BYTE_3
v_cvt_pk_fp8_f32 v159, v160, v162
v_lshrrev_b32 v163, 4, v161
v_cvt_off_f32_i4 v160, v163
v_cvt_off_f32_i4 v162, v163, src0_sel:BYTE_2
v_cvt_pk_fp8_f32 v158, v160, v162, op_sel:[0, 0, 1]
v_cvt_off_f32_i4 v160, v163, src0_sel:BYTE_1
v_cvt_off_f32_i4 v162, v163, src0_sel:BYTE_3
v_cvt_pk_fp8_f32 v159, v160, v162, op_sel:[0, 0, 1]

	;;#ASMEND
	ds_read_b64 v[164:165], v133 offset:16384
	s_waitcnt lgkmcnt(0)
	;;#ASMSTART
	v_cvt_off_f32_i4 v162, v164
v_cvt_off_f32_i4 v163, v164, src0_sel:BYTE_2
v_cvt_pk_fp8_f32 v160, v162, v163
v_cvt_off_f32_i4 v162, v164, src0_sel:BYTE_1
v_cvt_off_f32_i4 v163, v164, src0_sel:BYTE_3
v_cvt_pk_fp8_f32 v161, v162, v163
v_lshrrev_b32 v166, 4, v164
v_cvt_off_f32_i4 v162, v166
v_cvt_off_f32_i4 v163, v166, src0_sel:BYTE_2
v_cvt_pk_fp8_f32 v160, v162, v163, op_sel:[0, 0, 1]
v_cvt_off_f32_i4 v162, v166, src0_sel:BYTE_1
v_cvt_off_f32_i4 v163, v166, src0_sel:BYTE_3
v_cvt_pk_fp8_f32 v161, v162, v163, op_sel:[0, 0, 1]

	;;#ASMEND
	v_add_u32_e64 v196, 3, s20
	;;#ASMSTART
	v_cvt_off_f32_i4 v164, v165
v_cvt_off_f32_i4 v166, v165, src0_sel:BYTE_2
v_cvt_pk_fp8_f32 v162, v164, v166
v_cvt_off_f32_i4 v164, v165, src0_sel:BYTE_1
v_cvt_off_f32_i4 v166, v165, src0_sel:BYTE_3
v_cvt_pk_fp8_f32 v163, v164, v166
v_lshrrev_b32 v167, 4, v165
v_cvt_off_f32_i4 v164, v167
v_cvt_off_f32_i4 v166, v167, src0_sel:BYTE_2
v_cvt_pk_fp8_f32 v162, v164, v166, op_sel:[0, 0, 1]
v_cvt_off_f32_i4 v164, v167, src0_sel:BYTE_1
v_cvt_off_f32_i4 v166, v167, src0_sel:BYTE_3
v_cvt_pk_fp8_f32 v163, v164, v166, op_sel:[0, 0, 1]

	;;#ASMEND
	ds_read_b64 v[168:169], v132 offset:16384
	s_waitcnt lgkmcnt(0)
	;;#ASMSTART
	v_cvt_off_f32_i4 v166, v168
v_cvt_off_f32_i4 v167, v168, src0_sel:BYTE_2
v_cvt_pk_fp8_f32 v164, v166, v167
v_cvt_off_f32_i4 v166, v168, src0_sel:BYTE_1
v_cvt_off_f32_i4 v167, v168, src0_sel:BYTE_3
v_cvt_pk_fp8_f32 v165, v166, v167
v_lshrrev_b32 v170, 4, v168
v_cvt_off_f32_i4 v166, v170
v_cvt_off_f32_i4 v167, v170, src0_sel:BYTE_2
v_cvt_pk_fp8_f32 v164, v166, v167, op_sel:[0, 0, 1]
v_cvt_off_f32_i4 v166, v170, src0_sel:BYTE_1
v_cvt_off_f32_i4 v167, v170, src0_sel:BYTE_3
v_cvt_pk_fp8_f32 v165, v166, v167, op_sel:[0, 0, 1]

	;;#ASMEND
	s_nop 0
	;;#ASMSTART
	v_cvt_off_f32_i4 v168, v169
v_cvt_off_f32_i4 v170, v169, src0_sel:BYTE_2
v_cvt_pk_fp8_f32 v166, v168, v170
v_cvt_off_f32_i4 v168, v169, src0_sel:BYTE_1
v_cvt_off_f32_i4 v170, v169, src0_sel:BYTE_3
v_cvt_pk_fp8_f32 v167, v168, v170
v_lshrrev_b32 v171, 4, v169
v_cvt_off_f32_i4 v168, v171
v_cvt_off_f32_i4 v170, v171, src0_sel:BYTE_2
v_cvt_pk_fp8_f32 v166, v168, v170, op_sel:[0, 0, 1]
v_cvt_off_f32_i4 v168, v171, src0_sel:BYTE_1
v_cvt_off_f32_i4 v170, v171, src0_sel:BYTE_3
v_cvt_pk_fp8_f32 v167, v168, v170, op_sel:[0, 0, 1]

	;;#ASMEND
	ds_read_b64 v[172:173], v131 offset:16384
	s_waitcnt lgkmcnt(0)
	;;#ASMSTART
	v_cvt_off_f32_i4 v170, v172
v_cvt_off_f32_i4 v171, v172, src0_sel:BYTE_2
v_cvt_pk_fp8_f32 v168, v170, v171
v_cvt_off_f32_i4 v170, v172, src0_sel:BYTE_1
v_cvt_off_f32_i4 v171, v172, src0_sel:BYTE_3
v_cvt_pk_fp8_f32 v169, v170, v171
v_lshrrev_b32 v174, 4, v172
v_cvt_off_f32_i4 v170, v174
v_cvt_off_f32_i4 v171, v174, src0_sel:BYTE_2
v_cvt_pk_fp8_f32 v168, v170, v171, op_sel:[0, 0, 1]
v_cvt_off_f32_i4 v170, v174, src0_sel:BYTE_1
v_cvt_off_f32_i4 v171, v174, src0_sel:BYTE_3
v_cvt_pk_fp8_f32 v169, v170, v171, op_sel:[0, 0, 1]

	;;#ASMEND
	s_nop 0
	;; [unrolled: 35-line block ×5, first 2 shown]
	;;#ASMSTART
	v_cvt_off_f32_i4 v184, v185
v_cvt_off_f32_i4 v188, v185, src0_sel:BYTE_2
v_cvt_pk_fp8_f32 v182, v184, v188
v_cvt_off_f32_i4 v184, v185, src0_sel:BYTE_1
v_cvt_off_f32_i4 v188, v185, src0_sel:BYTE_3
v_cvt_pk_fp8_f32 v183, v184, v188
v_lshrrev_b32 v189, 4, v185
v_cvt_off_f32_i4 v184, v189
v_cvt_off_f32_i4 v188, v189, src0_sel:BYTE_2
v_cvt_pk_fp8_f32 v182, v184, v188, op_sel:[0, 0, 1]
v_cvt_off_f32_i4 v184, v189, src0_sel:BYTE_1
v_cvt_off_f32_i4 v188, v189, src0_sel:BYTE_3
v_cvt_pk_fp8_f32 v183, v184, v188, op_sel:[0, 0, 1]

	;;#ASMEND
	ds_read_b64 v[188:189], v127 offset:16384
	v_sub_u32_e32 v184, v196, v186
	v_mul_lo_u32 v184, v184, s16
	v_add3_u32 v190, v184, v187, s18
	s_waitcnt lgkmcnt(0)
	;;#ASMSTART
	v_cvt_off_f32_i4 v186, v188
v_cvt_off_f32_i4 v187, v188, src0_sel:BYTE_2
v_cvt_pk_fp8_f32 v184, v186, v187
v_cvt_off_f32_i4 v186, v188, src0_sel:BYTE_1
v_cvt_off_f32_i4 v187, v188, src0_sel:BYTE_3
v_cvt_pk_fp8_f32 v185, v186, v187
v_lshrrev_b32 v197, 4, v188
v_cvt_off_f32_i4 v186, v197
v_cvt_off_f32_i4 v187, v197, src0_sel:BYTE_2
v_cvt_pk_fp8_f32 v184, v186, v187, op_sel:[0, 0, 1]
v_cvt_off_f32_i4 v186, v197, src0_sel:BYTE_1
v_cvt_off_f32_i4 v187, v197, src0_sel:BYTE_3
v_cvt_pk_fp8_f32 v185, v186, v187, op_sel:[0, 0, 1]

	;;#ASMEND
	s_nop 0
	;;#ASMSTART
	v_cvt_off_f32_i4 v188, v189
v_cvt_off_f32_i4 v197, v189, src0_sel:BYTE_2
v_cvt_pk_fp8_f32 v186, v188, v197
v_cvt_off_f32_i4 v188, v189, src0_sel:BYTE_1
v_cvt_off_f32_i4 v197, v189, src0_sel:BYTE_3
v_cvt_pk_fp8_f32 v187, v188, v197
v_lshrrev_b32 v199, 4, v189
v_cvt_off_f32_i4 v188, v199
v_cvt_off_f32_i4 v197, v199, src0_sel:BYTE_2
v_cvt_pk_fp8_f32 v186, v188, v197, op_sel:[0, 0, 1]
v_cvt_off_f32_i4 v188, v199, src0_sel:BYTE_1
v_cvt_off_f32_i4 v197, v199, src0_sel:BYTE_3
v_cvt_pk_fp8_f32 v187, v188, v197, op_sel:[0, 0, 1]

	;;#ASMEND
	; sched_barrier mask(0x00000000)
	s_barrier
	; sched_barrier mask(0x00000000)
	v_mfma_f32_16x16x128_f8f6f4 v[62:65], v[66:73], v[156:163], v[62:65]
	; sched_barrier mask(0x00000000)
	s_setprio 1
	; sched_barrier mask(0x00000000)
	v_mfma_f32_16x16x128_f8f6f4 v[58:61], v[66:73], v[164:171], v[58:61]
	v_mfma_f32_16x16x128_f8f6f4 v[54:57], v[66:73], v[172:179], v[54:57]
	;; [unrolled: 1-line block ×14, first 2 shown]
	; sched_barrier mask(0x00000000)
	s_waitcnt lgkmcnt(0)
	s_barrier
	; sched_barrier mask(0x00000000)
	v_mfma_f32_16x16x128_f8f6f4 v[2:5], v[148:155], v[180:187], v[2:5]
	; sched_barrier mask(0x00000000)
	s_setprio 0
	; sched_barrier mask(0x00000000)
	v_lshrrev_b32_e32 v98, 31, v190
	v_sub_u32_e32 v100, v196, v196
	v_add_u32_e32 v101, v190, v98
	v_mad_u64_u32 v[98:99], s[24:25], v100, s16, v[190:191]
	v_mul_lo_u32 v99, v100, s16
	v_add_u32_e32 v102, 16, v98
	v_add_u32_e32 v98, 0x90, v98
	v_lshrrev_b32_e32 v103, 31, v102
	v_lshrrev_b32_e32 v104, 31, v98
	v_add3_u32 v149, v99, v98, -16
	v_add_u32_e32 v99, v102, v103
	v_add_u32_e32 v98, v98, v104
	v_lshrrev_b32_e32 v102, 31, v149
	v_ashrrev_i32_e32 v103, 1, v98
	v_add_u32_e32 v98, v149, v102
	buffer_load_dwordx4 v[66:69], v198, s[0:3], 0 offen offset:384
	buffer_load_dwordx4 v[70:73], v192, s[0:3], 0 offen offset:384
	;; [unrolled: 1-line block ×4, first 2 shown]
	v_ashrrev_i32_e32 v100, 1, v101
	v_ashrrev_i32_e32 v99, 1, v99
	;; [unrolled: 1-line block ×3, first 2 shown]
	buffer_load_dwordx2 v[100:101], v100, s[4:7], 0 offen
	s_nop 0
	buffer_load_dwordx2 v[98:99], v99, s[4:7], 0 offen
	s_nop 0
	;; [unrolled: 2-line block ×3, first 2 shown]
	buffer_load_dwordx2 v[104:105], v104, s[4:7], 0 offen
	v_add_u32_e32 v148, v191, v136
	v_add_u32_e32 v151, v195, v125
	v_lshrrev_b32_e32 v150, 31, v195
	s_waitcnt vmcnt(9)
	v_and_b32_e32 v152, 0xffff0000, v113
	v_and_b32_e32 v153, 0xff, v113
	;; [unrolled: 1-line block ×5, first 2 shown]
	ds_write_b128 v148, v[94:97] offset:128
	v_add_u32_e32 v94, v148, v121
	v_add3_u32 v95, v148, v122, v123
	v_lshrrev_b32_e32 v97, 31, v151
	v_add_u32_e32 v148, v151, v137
	v_add_u32_e64 v156, 4, s20
	v_add_u32_e32 v96, v195, v150
	v_or3_b32 v150, v113, v152, v153
	v_or3_b32 v152, v126, v155, v154
	ds_write_b128 v94, v[86:89] offset:256
	ds_write_b128 v95, v[90:93] offset:128
	v_add_u32_e32 v86, v95, v135
	v_add_u32_e32 v89, v151, v97
	v_lshrrev_b32_e32 v91, 31, v148
	v_add_u32_e32 v92, v148, v138
	v_sub_u32_e32 v153, v156, v196
	v_ashrrev_i32_e32 v88, 1, v96
	v_and_or_b32 v90, v112, s21, v152
	ds_write_b128 v86, v[82:85] offset:128
	ds_write_b64 v88, v[110:111] offset:16384
	v_ashrrev_i32_e32 v82, 1, v89
	v_add_u32_e32 v83, v148, v91
	v_lshrrev_b32_e32 v84, 31, v92
	v_add_u32_e32 v145, 16, v145
	s_add_i32 s20, s20, 2
	v_or3_b32 v87, v150, 0, 0
	v_mul_lo_u32 v93, v153, s16
	v_or_b32_sdwa v86, v90, v112 dst_sel:DWORD dst_unused:UNUSED_PAD src0_sel:DWORD src1_sel:BYTE_0
	s_waitcnt vmcnt(8)
	ds_write_b64 v82, v[108:109] offset:16384
	v_ashrrev_i32_e32 v82, 1, v83
	v_add_u32_e32 v83, v92, v84
	v_add_u32_e32 v124, v124, v141
	;; [unrolled: 1-line block ×8, first 2 shown]
	v_lshrrev_b32_e32 v113, 3, v145
	s_cmp_lt_i32 s20, s23
	v_add_u32_e32 v148, v92, v140
	v_add3_u32 v108, v93, v149, s18
	ds_write_b64 v82, v[86:87] offset:16384
	v_ashrrev_i32_e32 v82, 1, v83
	ds_write_b64 v82, v[106:107] offset:16384
	s_cbranch_scc1 .LBB1_12
; %bb.13:
	s_waitcnt lgkmcnt(0)
	s_barrier
	s_waitcnt vmcnt(7)
	ds_read_b128 v[66:69], v120
	s_waitcnt vmcnt(5)
	ds_read_b128 v[74:77], v120 offset:4096
	ds_read_b128 v[70:73], v139
	s_waitcnt vmcnt(1)
	ds_read_b64 v[102:103], v134 offset:16384
	ds_read_b128 v[78:81], v139 offset:4096
	ds_read_b128 v[86:89], v139 offset:8192
	;; [unrolled: 1-line block ×5, first 2 shown]
	s_waitcnt vmcnt(0) lgkmcnt(5)
	;;#ASMSTART
	v_cvt_off_f32_i4 v100, v102
v_cvt_off_f32_i4 v101, v102, src0_sel:BYTE_2
v_cvt_pk_fp8_f32 v98, v100, v101
v_cvt_off_f32_i4 v100, v102, src0_sel:BYTE_1
v_cvt_off_f32_i4 v101, v102, src0_sel:BYTE_3
v_cvt_pk_fp8_f32 v99, v100, v101
v_lshrrev_b32 v104, 4, v102
v_cvt_off_f32_i4 v100, v104
v_cvt_off_f32_i4 v101, v104, src0_sel:BYTE_2
v_cvt_pk_fp8_f32 v98, v100, v101, op_sel:[0, 0, 1]
v_cvt_off_f32_i4 v100, v104, src0_sel:BYTE_1
v_cvt_off_f32_i4 v101, v104, src0_sel:BYTE_3
v_cvt_pk_fp8_f32 v99, v100, v101, op_sel:[0, 0, 1]

	;;#ASMEND
	s_lshl_b64 s[0:1], s[10:11], 1
	;;#ASMSTART
	v_cvt_off_f32_i4 v102, v103
v_cvt_off_f32_i4 v104, v103, src0_sel:BYTE_2
v_cvt_pk_fp8_f32 v100, v102, v104
v_cvt_off_f32_i4 v102, v103, src0_sel:BYTE_1
v_cvt_off_f32_i4 v104, v103, src0_sel:BYTE_3
v_cvt_pk_fp8_f32 v101, v102, v104
v_lshrrev_b32 v105, 4, v103
v_cvt_off_f32_i4 v102, v105
v_cvt_off_f32_i4 v104, v105, src0_sel:BYTE_2
v_cvt_pk_fp8_f32 v100, v102, v104, op_sel:[0, 0, 1]
v_cvt_off_f32_i4 v102, v105, src0_sel:BYTE_1
v_cvt_off_f32_i4 v104, v105, src0_sel:BYTE_3
v_cvt_pk_fp8_f32 v101, v102, v104, op_sel:[0, 0, 1]

	;;#ASMEND
	ds_read_b64 v[106:107], v133 offset:16384
	s_waitcnt lgkmcnt(0)
	;;#ASMSTART
	v_cvt_off_f32_i4 v104, v106
v_cvt_off_f32_i4 v105, v106, src0_sel:BYTE_2
v_cvt_pk_fp8_f32 v102, v104, v105
v_cvt_off_f32_i4 v104, v106, src0_sel:BYTE_1
v_cvt_off_f32_i4 v105, v106, src0_sel:BYTE_3
v_cvt_pk_fp8_f32 v103, v104, v105
v_lshrrev_b32 v108, 4, v106
v_cvt_off_f32_i4 v104, v108
v_cvt_off_f32_i4 v105, v108, src0_sel:BYTE_2
v_cvt_pk_fp8_f32 v102, v104, v105, op_sel:[0, 0, 1]
v_cvt_off_f32_i4 v104, v108, src0_sel:BYTE_1
v_cvt_off_f32_i4 v105, v108, src0_sel:BYTE_3
v_cvt_pk_fp8_f32 v103, v104, v105, op_sel:[0, 0, 1]

	;;#ASMEND
	s_mul_i32 s2, s19, s17
	;;#ASMSTART
	v_cvt_off_f32_i4 v106, v107
v_cvt_off_f32_i4 v108, v107, src0_sel:BYTE_2
v_cvt_pk_fp8_f32 v104, v106, v108
v_cvt_off_f32_i4 v106, v107, src0_sel:BYTE_1
v_cvt_off_f32_i4 v108, v107, src0_sel:BYTE_3
v_cvt_pk_fp8_f32 v105, v106, v108
v_lshrrev_b32 v109, 4, v107
v_cvt_off_f32_i4 v106, v109
v_cvt_off_f32_i4 v108, v109, src0_sel:BYTE_2
v_cvt_pk_fp8_f32 v104, v106, v108, op_sel:[0, 0, 1]
v_cvt_off_f32_i4 v106, v109, src0_sel:BYTE_1
v_cvt_off_f32_i4 v108, v109, src0_sel:BYTE_3
v_cvt_pk_fp8_f32 v105, v106, v108, op_sel:[0, 0, 1]

	;;#ASMEND
	ds_read_b64 v[110:111], v132 offset:16384
	s_waitcnt lgkmcnt(0)
	;;#ASMSTART
	v_cvt_off_f32_i4 v108, v110
v_cvt_off_f32_i4 v109, v110, src0_sel:BYTE_2
v_cvt_pk_fp8_f32 v106, v108, v109
v_cvt_off_f32_i4 v108, v110, src0_sel:BYTE_1
v_cvt_off_f32_i4 v109, v110, src0_sel:BYTE_3
v_cvt_pk_fp8_f32 v107, v108, v109
v_lshrrev_b32 v112, 4, v110
v_cvt_off_f32_i4 v108, v112
v_cvt_off_f32_i4 v109, v112, src0_sel:BYTE_2
v_cvt_pk_fp8_f32 v106, v108, v109, op_sel:[0, 0, 1]
v_cvt_off_f32_i4 v108, v112, src0_sel:BYTE_1
v_cvt_off_f32_i4 v109, v112, src0_sel:BYTE_3
v_cvt_pk_fp8_f32 v107, v108, v109, op_sel:[0, 0, 1]

	;;#ASMEND
	s_mul_hi_u32 s3, 0, s17
	;;#ASMSTART
	v_cvt_off_f32_i4 v110, v111
v_cvt_off_f32_i4 v112, v111, src0_sel:BYTE_2
v_cvt_pk_fp8_f32 v108, v110, v112
v_cvt_off_f32_i4 v110, v111, src0_sel:BYTE_1
v_cvt_off_f32_i4 v112, v111, src0_sel:BYTE_3
v_cvt_pk_fp8_f32 v109, v110, v112
v_lshrrev_b32 v113, 4, v111
v_cvt_off_f32_i4 v110, v113
v_cvt_off_f32_i4 v112, v113, src0_sel:BYTE_2
v_cvt_pk_fp8_f32 v108, v110, v112, op_sel:[0, 0, 1]
v_cvt_off_f32_i4 v110, v113, src0_sel:BYTE_1
v_cvt_off_f32_i4 v112, v113, src0_sel:BYTE_3
v_cvt_pk_fp8_f32 v109, v110, v112, op_sel:[0, 0, 1]

	;;#ASMEND
	ds_read_b64 v[118:119], v131 offset:16384
	s_waitcnt lgkmcnt(0)
	;;#ASMSTART
	v_cvt_off_f32_i4 v112, v118
v_cvt_off_f32_i4 v113, v118, src0_sel:BYTE_2
v_cvt_pk_fp8_f32 v110, v112, v113
v_cvt_off_f32_i4 v112, v118, src0_sel:BYTE_1
v_cvt_off_f32_i4 v113, v118, src0_sel:BYTE_3
v_cvt_pk_fp8_f32 v111, v112, v113
v_lshrrev_b32 v117, 4, v118
v_cvt_off_f32_i4 v112, v117
v_cvt_off_f32_i4 v113, v117, src0_sel:BYTE_2
v_cvt_pk_fp8_f32 v110, v112, v113, op_sel:[0, 0, 1]
v_cvt_off_f32_i4 v112, v117, src0_sel:BYTE_1
v_cvt_off_f32_i4 v113, v117, src0_sel:BYTE_3
v_cvt_pk_fp8_f32 v111, v112, v113, op_sel:[0, 0, 1]

	;;#ASMEND
	s_add_u32 s20, s8, s0
	;;#ASMSTART
	v_cvt_off_f32_i4 v117, v119
v_cvt_off_f32_i4 v118, v119, src0_sel:BYTE_2
v_cvt_pk_fp8_f32 v112, v117, v118
v_cvt_off_f32_i4 v117, v119, src0_sel:BYTE_1
v_cvt_off_f32_i4 v118, v119, src0_sel:BYTE_3
v_cvt_pk_fp8_f32 v113, v117, v118
v_lshrrev_b32 v120, 4, v119
v_cvt_off_f32_i4 v117, v120
v_cvt_off_f32_i4 v118, v120, src0_sel:BYTE_2
v_cvt_pk_fp8_f32 v112, v117, v118, op_sel:[0, 0, 1]
v_cvt_off_f32_i4 v117, v120, src0_sel:BYTE_1
v_cvt_off_f32_i4 v118, v120, src0_sel:BYTE_3
v_cvt_pk_fp8_f32 v113, v117, v118, op_sel:[0, 0, 1]

	;;#ASMEND
	ds_read_b64 v[122:123], v130 offset:16384
	s_waitcnt lgkmcnt(0)
	;;#ASMSTART
	v_cvt_off_f32_i4 v117, v122
v_cvt_off_f32_i4 v120, v122, src0_sel:BYTE_2
v_cvt_pk_fp8_f32 v118, v117, v120
v_cvt_off_f32_i4 v117, v122, src0_sel:BYTE_1
v_cvt_off_f32_i4 v120, v122, src0_sel:BYTE_3
v_cvt_pk_fp8_f32 v119, v117, v120
v_lshrrev_b32 v121, 4, v122
v_cvt_off_f32_i4 v117, v121
v_cvt_off_f32_i4 v120, v121, src0_sel:BYTE_2
v_cvt_pk_fp8_f32 v118, v117, v120, op_sel:[0, 0, 1]
v_cvt_off_f32_i4 v117, v121, src0_sel:BYTE_1
v_cvt_off_f32_i4 v120, v121, src0_sel:BYTE_3
v_cvt_pk_fp8_f32 v119, v117, v120, op_sel:[0, 0, 1]

	;;#ASMEND
	s_addc_u32 s21, s9, s1
	;;#ASMSTART
	v_cvt_off_f32_i4 v117, v123
v_cvt_off_f32_i4 v122, v123, src0_sel:BYTE_2
v_cvt_pk_fp8_f32 v120, v117, v122
v_cvt_off_f32_i4 v117, v123, src0_sel:BYTE_1
v_cvt_off_f32_i4 v122, v123, src0_sel:BYTE_3
v_cvt_pk_fp8_f32 v121, v117, v122
v_lshrrev_b32 v124, 4, v123
v_cvt_off_f32_i4 v117, v124
v_cvt_off_f32_i4 v122, v124, src0_sel:BYTE_2
v_cvt_pk_fp8_f32 v120, v117, v122, op_sel:[0, 0, 1]
v_cvt_off_f32_i4 v117, v124, src0_sel:BYTE_1
v_cvt_off_f32_i4 v122, v124, src0_sel:BYTE_3
v_cvt_pk_fp8_f32 v121, v117, v122, op_sel:[0, 0, 1]

	;;#ASMEND
	ds_read_b64 v[130:131], v129 offset:16384
	s_waitcnt lgkmcnt(0)
	;;#ASMSTART
	v_cvt_off_f32_i4 v117, v130
v_cvt_off_f32_i4 v124, v130, src0_sel:BYTE_2
v_cvt_pk_fp8_f32 v122, v117, v124
v_cvt_off_f32_i4 v117, v130, src0_sel:BYTE_1
v_cvt_off_f32_i4 v124, v130, src0_sel:BYTE_3
v_cvt_pk_fp8_f32 v123, v117, v124
v_lshrrev_b32 v125, 4, v130
v_cvt_off_f32_i4 v117, v125
v_cvt_off_f32_i4 v124, v125, src0_sel:BYTE_2
v_cvt_pk_fp8_f32 v122, v117, v124, op_sel:[0, 0, 1]
v_cvt_off_f32_i4 v117, v125, src0_sel:BYTE_1
v_cvt_off_f32_i4 v124, v125, src0_sel:BYTE_3
v_cvt_pk_fp8_f32 v123, v117, v124, op_sel:[0, 0, 1]

	;;#ASMEND
	s_add_i32 s3, s3, s2
	;;#ASMSTART
	v_cvt_off_f32_i4 v117, v131
v_cvt_off_f32_i4 v126, v131, src0_sel:BYTE_2
v_cvt_pk_fp8_f32 v124, v117, v126
v_cvt_off_f32_i4 v117, v131, src0_sel:BYTE_1
v_cvt_off_f32_i4 v126, v131, src0_sel:BYTE_3
v_cvt_pk_fp8_f32 v125, v117, v126
v_lshrrev_b32 v129, 4, v131
v_cvt_off_f32_i4 v117, v129
v_cvt_off_f32_i4 v126, v129, src0_sel:BYTE_2
v_cvt_pk_fp8_f32 v124, v117, v126, op_sel:[0, 0, 1]
v_cvt_off_f32_i4 v117, v129, src0_sel:BYTE_1
v_cvt_off_f32_i4 v126, v129, src0_sel:BYTE_3
v_cvt_pk_fp8_f32 v125, v117, v126, op_sel:[0, 0, 1]

	;;#ASMEND
	ds_read_b64 v[132:133], v128 offset:16384
	s_waitcnt lgkmcnt(0)
	;;#ASMSTART
	v_cvt_off_f32_i4 v117, v132
v_cvt_off_f32_i4 v126, v132, src0_sel:BYTE_2
v_cvt_pk_fp8_f32 v128, v117, v126
v_cvt_off_f32_i4 v117, v132, src0_sel:BYTE_1
v_cvt_off_f32_i4 v126, v132, src0_sel:BYTE_3
v_cvt_pk_fp8_f32 v129, v117, v126
v_lshrrev_b32 v130, 4, v132
v_cvt_off_f32_i4 v117, v130
v_cvt_off_f32_i4 v126, v130, src0_sel:BYTE_2
v_cvt_pk_fp8_f32 v128, v117, v126, op_sel:[0, 0, 1]
v_cvt_off_f32_i4 v117, v130, src0_sel:BYTE_1
v_cvt_off_f32_i4 v126, v130, src0_sel:BYTE_3
v_cvt_pk_fp8_f32 v129, v117, v126, op_sel:[0, 0, 1]

	;;#ASMEND
	s_nop 0
	;;#ASMSTART
	v_cvt_off_f32_i4 v117, v133
v_cvt_off_f32_i4 v126, v133, src0_sel:BYTE_2
v_cvt_pk_fp8_f32 v130, v117, v126
v_cvt_off_f32_i4 v117, v133, src0_sel:BYTE_1
v_cvt_off_f32_i4 v126, v133, src0_sel:BYTE_3
v_cvt_pk_fp8_f32 v131, v117, v126
v_lshrrev_b32 v132, 4, v133
v_cvt_off_f32_i4 v117, v132
v_cvt_off_f32_i4 v126, v132, src0_sel:BYTE_2
v_cvt_pk_fp8_f32 v130, v117, v126, op_sel:[0, 0, 1]
v_cvt_off_f32_i4 v117, v132, src0_sel:BYTE_1
v_cvt_off_f32_i4 v126, v132, src0_sel:BYTE_3
v_cvt_pk_fp8_f32 v131, v117, v126, op_sel:[0, 0, 1]

	;;#ASMEND
	ds_read_b64 v[126:127], v127 offset:16384
	s_waitcnt lgkmcnt(0)
	;;#ASMSTART
	v_cvt_off_f32_i4 v117, v126
v_cvt_off_f32_i4 v134, v126, src0_sel:BYTE_2
v_cvt_pk_fp8_f32 v132, v117, v134
v_cvt_off_f32_i4 v117, v126, src0_sel:BYTE_1
v_cvt_off_f32_i4 v134, v126, src0_sel:BYTE_3
v_cvt_pk_fp8_f32 v133, v117, v134
v_lshrrev_b32 v135, 4, v126
v_cvt_off_f32_i4 v117, v135
v_cvt_off_f32_i4 v134, v135, src0_sel:BYTE_2
v_cvt_pk_fp8_f32 v132, v117, v134, op_sel:[0, 0, 1]
v_cvt_off_f32_i4 v117, v135, src0_sel:BYTE_1
v_cvt_off_f32_i4 v134, v135, src0_sel:BYTE_3
v_cvt_pk_fp8_f32 v133, v117, v134, op_sel:[0, 0, 1]

	;;#ASMEND
	s_nop 0
	;;#ASMSTART
	v_cvt_off_f32_i4 v117, v127
v_cvt_off_f32_i4 v126, v127, src0_sel:BYTE_2
v_cvt_pk_fp8_f32 v134, v117, v126
v_cvt_off_f32_i4 v117, v127, src0_sel:BYTE_1
v_cvt_off_f32_i4 v126, v127, src0_sel:BYTE_3
v_cvt_pk_fp8_f32 v135, v117, v126
v_lshrrev_b32 v136, 4, v127
v_cvt_off_f32_i4 v117, v136
v_cvt_off_f32_i4 v126, v136, src0_sel:BYTE_2
v_cvt_pk_fp8_f32 v134, v117, v126, op_sel:[0, 0, 1]
v_cvt_off_f32_i4 v117, v136, src0_sel:BYTE_1
v_cvt_off_f32_i4 v126, v136, src0_sel:BYTE_3
v_cvt_pk_fp8_f32 v135, v117, v126, op_sel:[0, 0, 1]

	;;#ASMEND
	; sched_barrier mask(0x00000000)
	s_barrier
	; sched_barrier mask(0x00000000)
	v_mfma_f32_16x16x128_f8f6f4 v[62:65], v[66:73], v[98:105], v[62:65]
	; sched_barrier mask(0x00000000)
	s_setprio 1
	; sched_barrier mask(0x00000000)
	v_mfma_f32_16x16x128_f8f6f4 v[58:61], v[66:73], v[106:113], v[58:61]
	v_mfma_f32_16x16x128_f8f6f4 v[54:57], v[66:73], v[118:125], v[54:57]
	v_mfma_f32_16x16x128_f8f6f4 v[50:53], v[66:73], v[128:135], v[50:53]
	v_mfma_f32_16x16x128_f8f6f4 v[46:49], v[74:81], v[98:105], v[46:49]
	v_mfma_f32_16x16x128_f8f6f4 v[42:45], v[74:81], v[106:113], v[42:45]
	v_mfma_f32_16x16x128_f8f6f4 v[38:41], v[74:81], v[118:125], v[38:41]
	v_mfma_f32_16x16x128_f8f6f4 v[34:37], v[74:81], v[128:135], v[34:37]
	v_mfma_f32_16x16x128_f8f6f4 v[30:33], v[82:89], v[98:105], v[30:33]
	v_mfma_f32_16x16x128_f8f6f4 v[26:29], v[82:89], v[106:113], v[26:29]
	v_mfma_f32_16x16x128_f8f6f4 v[22:25], v[82:89], v[118:125], v[22:25]
	v_mfma_f32_16x16x128_f8f6f4 v[18:21], v[82:89], v[128:135], v[18:21]
	v_mfma_f32_16x16x128_f8f6f4 v[14:17], v[90:97], v[98:105], v[14:17]
	v_mfma_f32_16x16x128_f8f6f4 v[10:13], v[90:97], v[106:113], v[10:13]
	v_mfma_f32_16x16x128_f8f6f4 v[6:9], v[90:97], v[118:125], v[6:9]
	; sched_barrier mask(0x00000000)
	s_waitcnt lgkmcnt(0)
	s_barrier
	; sched_barrier mask(0x00000000)
	v_mfma_f32_16x16x128_f8f6f4 v[2:5], v[90:97], v[128:135], v[2:5]
	; sched_barrier mask(0x00000000)
	s_setprio 0
	; sched_barrier mask(0x00000000)
	v_lshlrev_b32_e32 v0, 2, v0
	v_and_b32_e32 v69, 28, v0
	v_and_b32_e32 v66, 12, v115
	v_or_b32_e32 v0, s14, v69
	v_lshl_or_b32 v70, s22, 7, v1
	v_and_or_b32 v68, v1, 16, v66
	v_mad_u64_u32 v[66:67], s[0:1], v70, s17, v[0:1]
	v_cvt_f16_f32_e32 v62, v62
	v_lshlrev_b32_e32 v67, 6, v68
	v_cvt_f16_f32_e32 v63, v63
	v_lshl_or_b32 v67, v116, 1, v67
	v_cvt_f16_f32_e32 v64, v64
	v_lshl_add_u32 v67, v114, 1, v67
	v_cvt_f16_f32_e32 v65, v65
	s_waitcnt lgkmcnt(0)
	s_barrier
	ds_write_b16 v67, v62
	ds_write_b16 v67, v63 offset:64
	ds_write_b16 v67, v64 offset:128
	;; [unrolled: 1-line block ×3, first 2 shown]
	v_lshlrev_b32_e32 v62, 1, v69
	v_lshl_or_b32 v64, v1, 6, v62
	s_waitcnt lgkmcnt(0)
	s_barrier
	ds_read_b64 v[62:63], v64
	v_cmp_gt_i32_e32 vcc, s13, v0
	v_cmp_gt_i32_e64 s[6:7], s12, v70
	s_add_i32 s0, s13, s3
	v_cvt_f16_f32_e32 v58, v58
	s_lshl_b32 s22, s0, 1
	v_bfrev_b32_e32 v65, 1
	s_and_b64 s[0:1], s[6:7], vcc
	v_cvt_f16_f32_e32 v59, v59
	v_lshlrev_b32_e32 v1, 1, v66
	v_cndmask_b32_e64 v68, v65, 0, s[0:1]
	v_cvt_f16_f32_e32 v60, v60
	s_mov_b32 s23, 0x20000
	v_add_u32_e32 v68, v68, v1
	v_cvt_f16_f32_e32 v61, v61
	s_waitcnt lgkmcnt(0)
	buffer_atomic_pk_add_f16 v62, v68, s[20:23], 0 offen
	buffer_atomic_pk_add_f16 v63, v68, s[20:23], 4 offen
	v_or_b32_e32 v62, 32, v0
	s_waitcnt lgkmcnt(0)
	s_barrier
	ds_write_b16 v67, v58
	ds_write_b16 v67, v59 offset:64
	ds_write_b16 v67, v60 offset:128
	ds_write_b16 v67, v61 offset:192
	s_waitcnt lgkmcnt(0)
	s_barrier
	ds_read_b64 v[58:59], v64
	v_cmp_gt_i32_e64 s[0:1], s13, v62
	v_cvt_f16_f32_e32 v54, v54
	s_and_b64 s[2:3], s[6:7], s[0:1]
	v_cvt_f16_f32_e32 v55, v55
	v_cndmask_b32_e64 v60, v65, 0, s[2:3]
	v_cvt_f16_f32_e32 v56, v56
	v_add_u32_e32 v60, v1, v60
	v_cvt_f16_f32_e32 v57, v57
	s_waitcnt lgkmcnt(0)
	buffer_atomic_pk_add_f16 v58, v60, s[20:23], 0 offen offset:64
	buffer_atomic_pk_add_f16 v59, v60, s[20:23], 4 offen offset:64
	v_or_b32_e32 v58, 64, v0
	s_waitcnt lgkmcnt(0)
	s_barrier
	ds_write_b16 v67, v54
	ds_write_b16 v67, v55 offset:64
	ds_write_b16 v67, v56 offset:128
	;; [unrolled: 1-line block ×3, first 2 shown]
	s_waitcnt lgkmcnt(0)
	s_barrier
	ds_read_b64 v[54:55], v64
	v_cmp_gt_i32_e64 s[2:3], s13, v58
	s_and_b64 s[4:5], s[6:7], s[2:3]
	v_cndmask_b32_e64 v56, v65, 0, s[4:5]
	v_add_u32_e32 v1, v1, v56
	s_waitcnt lgkmcnt(0)
	buffer_atomic_pk_add_f16 v54, v1, s[20:23], 0 offen offset:128
	buffer_atomic_pk_add_f16 v55, v1, s[20:23], 4 offen offset:128
	v_or_b32_e32 v54, 0x60, v0
	v_cvt_f16_f32_e32 v0, v50
	v_cvt_f16_f32_e32 v1, v51
	;; [unrolled: 1-line block ×4, first 2 shown]
	s_waitcnt lgkmcnt(0)
	s_barrier
	ds_write_b16 v67, v0
	ds_write_b16 v67, v1 offset:64
	ds_write_b16 v67, v50 offset:128
	;; [unrolled: 1-line block ×3, first 2 shown]
	s_waitcnt lgkmcnt(0)
	s_barrier
	ds_read_b64 v[0:1], v64
	v_cmp_gt_i32_e64 s[4:5], s13, v54
	s_and_b64 s[6:7], s[6:7], s[4:5]
	v_add_u32_e32 v55, 0x60, v66
	v_cndmask_b32_e64 v50, v65, 0, s[6:7]
	v_lshl_add_u32 v50, v55, 1, v50
	s_waitcnt lgkmcnt(0)
	buffer_atomic_pk_add_f16 v0, v50, s[20:23], 0 offen
	buffer_atomic_pk_add_f16 v1, v50, s[20:23], 4 offen
	v_cvt_f16_f32_e32 v0, v34
	v_cvt_f16_f32_e32 v1, v35
	;; [unrolled: 1-line block ×4, first 2 shown]
	v_or_b32_e32 v50, 32, v70
	s_waitcnt lgkmcnt(0)
	s_barrier
	ds_write_b16 v67, v0
	ds_write_b16 v67, v1 offset:64
	ds_write_b16 v67, v34 offset:128
	;; [unrolled: 1-line block ×3, first 2 shown]
	s_waitcnt lgkmcnt(0)
	s_barrier
	ds_read_b64 v[0:1], v64
	v_cmp_gt_i32_e64 s[6:7], s12, v50
	s_lshl_b32 s10, s17, 5
	s_and_b64 s[8:9], s[6:7], s[4:5]
	v_add_lshl_u32 v34, v55, s10, 1
	v_cndmask_b32_e64 v35, v65, 0, s[8:9]
	v_add_u32_e32 v35, v34, v35
	s_waitcnt lgkmcnt(0)
	buffer_atomic_pk_add_f16 v0, v35, s[20:23], 0 offen
	buffer_atomic_pk_add_f16 v1, v35, s[20:23], 4 offen
	v_cvt_f16_f32_e32 v0, v38
	v_cvt_f16_f32_e32 v1, v39
	;; [unrolled: 1-line block ×4, first 2 shown]
	s_waitcnt lgkmcnt(0)
	s_barrier
	ds_write_b16 v67, v0
	ds_write_b16 v67, v1 offset:64
	ds_write_b16 v67, v35 offset:128
	;; [unrolled: 1-line block ×3, first 2 shown]
	s_waitcnt lgkmcnt(0)
	s_barrier
	ds_read_b64 v[0:1], v64
	v_mov_b32_e32 v35, 0x7fffffc0
	v_not_b32_e32 v36, 63
	s_and_b64 s[8:9], s[6:7], s[2:3]
	v_cndmask_b32_e64 v37, v35, v36, s[8:9]
	v_add_u32_e32 v37, v34, v37
	s_waitcnt lgkmcnt(0)
	buffer_atomic_pk_add_f16 v0, v37, s[20:23], 0 offen
	buffer_atomic_pk_add_f16 v1, v37, s[20:23], 4 offen
	v_cvt_f16_f32_e32 v0, v42
	v_cvt_f16_f32_e32 v1, v43
	;; [unrolled: 1-line block ×4, first 2 shown]
	s_waitcnt lgkmcnt(0)
	s_barrier
	ds_write_b16 v67, v0
	ds_write_b16 v67, v1 offset:64
	ds_write_b16 v67, v37 offset:128
	;; [unrolled: 1-line block ×3, first 2 shown]
	s_waitcnt lgkmcnt(0)
	s_barrier
	ds_read_b64 v[0:1], v64
	v_mov_b32_e32 v37, 0x7fffff80
	v_mov_b32_e32 v38, 0xffffff80
	s_and_b64 s[8:9], s[6:7], s[0:1]
	v_cndmask_b32_e64 v39, v37, v38, s[8:9]
	v_add_u32_e32 v34, v34, v39
	s_waitcnt lgkmcnt(0)
	buffer_atomic_pk_add_f16 v0, v34, s[20:23], 0 offen
	buffer_atomic_pk_add_f16 v1, v34, s[20:23], 4 offen
	v_cvt_f16_f32_e32 v0, v46
	v_cvt_f16_f32_e32 v1, v47
	;; [unrolled: 1-line block ×4, first 2 shown]
	s_waitcnt lgkmcnt(0)
	s_barrier
	ds_write_b16 v67, v0
	ds_write_b16 v67, v1 offset:64
	ds_write_b16 v67, v34 offset:128
	ds_write_b16 v67, v39 offset:192
	s_waitcnt lgkmcnt(0)
	s_barrier
	ds_read_b64 v[0:1], v64
	s_and_b64 s[6:7], vcc, s[6:7]
	v_add_u32_e32 v34, s10, v66
	v_cndmask_b32_e64 v39, v65, 0, s[6:7]
	v_lshl_add_u32 v39, v34, 1, v39
	s_waitcnt lgkmcnt(0)
	buffer_atomic_pk_add_f16 v0, v39, s[20:23], 0 offen
	buffer_atomic_pk_add_f16 v1, v39, s[20:23], 4 offen
	v_cvt_f16_f32_e32 v0, v30
	v_cvt_f16_f32_e32 v1, v31
	;; [unrolled: 1-line block ×4, first 2 shown]
	v_or_b32_e32 v39, 64, v70
	s_waitcnt lgkmcnt(0)
	s_barrier
	ds_write_b16 v67, v0
	ds_write_b16 v67, v1 offset:64
	ds_write_b16 v67, v30 offset:128
	;; [unrolled: 1-line block ×3, first 2 shown]
	s_waitcnt lgkmcnt(0)
	s_barrier
	ds_read_b64 v[0:1], v64
	v_cmp_gt_i32_e64 s[6:7], s12, v39
	v_add_u32_e32 v34, s10, v34
	s_and_b64 s[8:9], vcc, s[6:7]
	v_lshlrev_b32_e32 v30, 1, v34
	v_cndmask_b32_e64 v31, v65, 0, s[8:9]
	v_add_u32_e32 v31, v30, v31
	s_waitcnt lgkmcnt(0)
	buffer_atomic_pk_add_f16 v0, v31, s[20:23], 0 offen
	buffer_atomic_pk_add_f16 v1, v31, s[20:23], 4 offen
	v_cvt_f16_f32_e32 v0, v26
	v_cvt_f16_f32_e32 v1, v27
	;; [unrolled: 1-line block ×4, first 2 shown]
	s_waitcnt lgkmcnt(0)
	s_barrier
	ds_write_b16 v67, v0
	ds_write_b16 v67, v1 offset:64
	ds_write_b16 v67, v26 offset:128
	;; [unrolled: 1-line block ×3, first 2 shown]
	s_waitcnt lgkmcnt(0)
	s_barrier
	ds_read_b64 v[0:1], v64
	v_mov_b32_e32 v26, 0x80000040
	s_and_b64 s[8:9], s[6:7], s[0:1]
	v_cndmask_b32_e64 v26, v26, 64, s[8:9]
	v_add_u32_e32 v26, v30, v26
	s_waitcnt lgkmcnt(0)
	buffer_atomic_pk_add_f16 v0, v26, s[20:23], 0 offen
	buffer_atomic_pk_add_f16 v1, v26, s[20:23], 4 offen
	v_cvt_f16_f32_e32 v0, v22
	v_cvt_f16_f32_e32 v1, v23
	;; [unrolled: 1-line block ×4, first 2 shown]
	s_waitcnt lgkmcnt(0)
	s_barrier
	ds_write_b16 v67, v0
	ds_write_b16 v67, v1 offset:64
	ds_write_b16 v67, v22 offset:128
	;; [unrolled: 1-line block ×3, first 2 shown]
	s_waitcnt lgkmcnt(0)
	s_barrier
	ds_read_b64 v[0:1], v64
	v_mov_b32_e32 v22, 0x80000080
	v_mov_b32_e32 v23, 0x80
	s_and_b64 s[8:9], s[6:7], s[2:3]
	v_cndmask_b32_e64 v22, v22, v23, s[8:9]
	v_add_u32_e32 v22, v30, v22
	s_waitcnt lgkmcnt(0)
	buffer_atomic_pk_add_f16 v0, v22, s[20:23], 0 offen
	buffer_atomic_pk_add_f16 v1, v22, s[20:23], 4 offen
	v_cvt_f16_f32_e32 v0, v18
	v_cvt_f16_f32_e32 v1, v19
	;; [unrolled: 1-line block ×4, first 2 shown]
	s_waitcnt lgkmcnt(0)
	s_barrier
	ds_write_b16 v67, v0
	ds_write_b16 v67, v1 offset:64
	ds_write_b16 v67, v18 offset:128
	ds_write_b16 v67, v19 offset:192
	s_waitcnt lgkmcnt(0)
	s_barrier
	ds_read_b64 v[0:1], v64
	s_and_b64 s[6:7], s[6:7], s[4:5]
	v_add_u32_e32 v18, 0x60, v34
	v_cndmask_b32_e64 v19, v65, 0, s[6:7]
	v_lshl_add_u32 v19, v18, 1, v19
	s_waitcnt lgkmcnt(0)
	buffer_atomic_pk_add_f16 v0, v19, s[20:23], 0 offen
	buffer_atomic_pk_add_f16 v1, v19, s[20:23], 4 offen
	v_cvt_f16_f32_e32 v0, v2
	v_cvt_f16_f32_e32 v1, v3
	;; [unrolled: 1-line block ×4, first 2 shown]
	v_or_b32_e32 v19, 0x60, v70
	s_waitcnt lgkmcnt(0)
	s_barrier
	ds_write_b16 v67, v0
	ds_write_b16 v67, v1 offset:64
	ds_write_b16 v67, v2 offset:128
	;; [unrolled: 1-line block ×3, first 2 shown]
	s_waitcnt lgkmcnt(0)
	s_barrier
	ds_read_b64 v[0:1], v64
	v_cmp_gt_i32_e64 s[6:7], s12, v19
	s_and_b64 s[4:5], s[6:7], s[4:5]
	v_add_lshl_u32 v2, v18, s10, 1
	v_cndmask_b32_e64 v3, v65, 0, s[4:5]
	v_add_u32_e32 v3, v2, v3
	s_waitcnt lgkmcnt(0)
	buffer_atomic_pk_add_f16 v0, v3, s[20:23], 0 offen
	buffer_atomic_pk_add_f16 v1, v3, s[20:23], 4 offen
	v_cvt_f16_f32_e32 v0, v6
	v_cvt_f16_f32_e32 v1, v7
	;; [unrolled: 1-line block ×4, first 2 shown]
	s_waitcnt lgkmcnt(0)
	s_barrier
	ds_write_b16 v67, v0
	ds_write_b16 v67, v1 offset:64
	ds_write_b16 v67, v3 offset:128
	;; [unrolled: 1-line block ×3, first 2 shown]
	s_waitcnt lgkmcnt(0)
	s_barrier
	ds_read_b64 v[0:1], v64
	s_and_b64 s[2:3], s[6:7], s[2:3]
	v_cndmask_b32_e64 v3, v35, v36, s[2:3]
	v_add_u32_e32 v3, v2, v3
	s_waitcnt lgkmcnt(0)
	buffer_atomic_pk_add_f16 v0, v3, s[20:23], 0 offen
	buffer_atomic_pk_add_f16 v1, v3, s[20:23], 4 offen
	v_cvt_f16_f32_e32 v0, v10
	v_cvt_f16_f32_e32 v1, v11
	;; [unrolled: 1-line block ×4, first 2 shown]
	s_waitcnt lgkmcnt(0)
	s_barrier
	ds_write_b16 v67, v0
	ds_write_b16 v67, v1 offset:64
	ds_write_b16 v67, v3 offset:128
	;; [unrolled: 1-line block ×3, first 2 shown]
	s_waitcnt lgkmcnt(0)
	s_barrier
	ds_read_b64 v[0:1], v64
	s_and_b64 s[0:1], s[6:7], s[0:1]
	v_cndmask_b32_e64 v3, v37, v38, s[0:1]
	v_add_u32_e32 v2, v2, v3
	s_waitcnt lgkmcnt(0)
	buffer_atomic_pk_add_f16 v0, v2, s[20:23], 0 offen
	buffer_atomic_pk_add_f16 v1, v2, s[20:23], 4 offen
	v_cvt_f16_f32_e32 v0, v14
	v_cvt_f16_f32_e32 v1, v15
	;; [unrolled: 1-line block ×4, first 2 shown]
	s_waitcnt lgkmcnt(0)
	s_barrier
	ds_write_b16 v67, v0
	ds_write_b16 v67, v1 offset:64
	ds_write_b16 v67, v2 offset:128
	;; [unrolled: 1-line block ×3, first 2 shown]
	s_waitcnt lgkmcnt(0)
	s_barrier
	ds_read_b64 v[0:1], v64
	s_and_b64 s[0:1], vcc, s[6:7]
	v_add_u32_e32 v2, s10, v34
	v_cndmask_b32_e64 v3, v65, 0, s[0:1]
	v_lshl_add_u32 v2, v2, 1, v3
	s_waitcnt lgkmcnt(0)
	buffer_atomic_pk_add_f16 v0, v2, s[20:23], 0 offen
	buffer_atomic_pk_add_f16 v1, v2, s[20:23], 4 offen
	s_endpgm
	.section	.rodata,"a",@progbits
	.p2align	6, 0x0
	.amdhsa_kernel _ZN2ck27kernel_gemm_xdl_cshuffle_v3INS_28GridwiseGemm_xdl_cshuffle_v3INS_13tensor_layout4gemm8RowMajorENS3_11ColumnMajorES4_NS_9f8_fnuz_tENS_7pk_i4_tEfDF16_DF16_NS_16tensor_operation12element_wise11PassThroughESA_SA_LNS8_6device18GemmSpecializationE0ELi256ELi128ELi128ELi128ELi16ELi16ELi16ELi16ELi4ELi4ENS_8SequenceIJLi8ELi32ELi1EEEENSD_IJLi1ELi0ELi2EEEESF_Li2ELi16ELi16ELb0ELi0ENSD_IJLi4ELi64ELi1EEEESF_SF_Li2ELi16ELi16ELb0ELi0ELi1ELi1ENSD_IJLi1ELi32ELi1ELi8EEEELi4ELNS_26BlockGemmPipelineSchedulerE1ELNS_24BlockGemmPipelineVersionE1ES6_S6_Lb0ELb1ELb0ELi0ELb0EEELb1ELNS_25InMemoryDataOperationEnumE1ELi2ELNS_10TailNumberE2EEEvNT_8ArgumentE
		.amdhsa_group_segment_fixed_size 24576
		.amdhsa_private_segment_fixed_size 0
		.amdhsa_kernarg_size 112
		.amdhsa_user_sgpr_count 2
		.amdhsa_user_sgpr_dispatch_ptr 0
		.amdhsa_user_sgpr_queue_ptr 0
		.amdhsa_user_sgpr_kernarg_segment_ptr 1
		.amdhsa_user_sgpr_dispatch_id 0
		.amdhsa_user_sgpr_kernarg_preload_length 0
		.amdhsa_user_sgpr_kernarg_preload_offset 0
		.amdhsa_user_sgpr_private_segment_size 0
		.amdhsa_uses_dynamic_stack 0
		.amdhsa_enable_private_segment 0
		.amdhsa_system_sgpr_workgroup_id_x 1
		.amdhsa_system_sgpr_workgroup_id_y 0
		.amdhsa_system_sgpr_workgroup_id_z 1
		.amdhsa_system_sgpr_workgroup_info 0
		.amdhsa_system_vgpr_workitem_id 0
		.amdhsa_next_free_vgpr 200
		.amdhsa_next_free_sgpr 91
		.amdhsa_accum_offset 200
		.amdhsa_reserve_vcc 1
		.amdhsa_float_round_mode_32 0
		.amdhsa_float_round_mode_16_64 0
		.amdhsa_float_denorm_mode_32 3
		.amdhsa_float_denorm_mode_16_64 3
		.amdhsa_dx10_clamp 1
		.amdhsa_ieee_mode 1
		.amdhsa_fp16_overflow 0
		.amdhsa_tg_split 0
		.amdhsa_exception_fp_ieee_invalid_op 0
		.amdhsa_exception_fp_denorm_src 0
		.amdhsa_exception_fp_ieee_div_zero 0
		.amdhsa_exception_fp_ieee_overflow 0
		.amdhsa_exception_fp_ieee_underflow 0
		.amdhsa_exception_fp_ieee_inexact 0
		.amdhsa_exception_int_div_zero 0
	.end_amdhsa_kernel
	.section	.text._ZN2ck27kernel_gemm_xdl_cshuffle_v3INS_28GridwiseGemm_xdl_cshuffle_v3INS_13tensor_layout4gemm8RowMajorENS3_11ColumnMajorES4_NS_9f8_fnuz_tENS_7pk_i4_tEfDF16_DF16_NS_16tensor_operation12element_wise11PassThroughESA_SA_LNS8_6device18GemmSpecializationE0ELi256ELi128ELi128ELi128ELi16ELi16ELi16ELi16ELi4ELi4ENS_8SequenceIJLi8ELi32ELi1EEEENSD_IJLi1ELi0ELi2EEEESF_Li2ELi16ELi16ELb0ELi0ENSD_IJLi4ELi64ELi1EEEESF_SF_Li2ELi16ELi16ELb0ELi0ELi1ELi1ENSD_IJLi1ELi32ELi1ELi8EEEELi4ELNS_26BlockGemmPipelineSchedulerE1ELNS_24BlockGemmPipelineVersionE1ES6_S6_Lb0ELb1ELb0ELi0ELb0EEELb1ELNS_25InMemoryDataOperationEnumE1ELi2ELNS_10TailNumberE2EEEvNT_8ArgumentE,"axG",@progbits,_ZN2ck27kernel_gemm_xdl_cshuffle_v3INS_28GridwiseGemm_xdl_cshuffle_v3INS_13tensor_layout4gemm8RowMajorENS3_11ColumnMajorES4_NS_9f8_fnuz_tENS_7pk_i4_tEfDF16_DF16_NS_16tensor_operation12element_wise11PassThroughESA_SA_LNS8_6device18GemmSpecializationE0ELi256ELi128ELi128ELi128ELi16ELi16ELi16ELi16ELi4ELi4ENS_8SequenceIJLi8ELi32ELi1EEEENSD_IJLi1ELi0ELi2EEEESF_Li2ELi16ELi16ELb0ELi0ENSD_IJLi4ELi64ELi1EEEESF_SF_Li2ELi16ELi16ELb0ELi0ELi1ELi1ENSD_IJLi1ELi32ELi1ELi8EEEELi4ELNS_26BlockGemmPipelineSchedulerE1ELNS_24BlockGemmPipelineVersionE1ES6_S6_Lb0ELb1ELb0ELi0ELb0EEELb1ELNS_25InMemoryDataOperationEnumE1ELi2ELNS_10TailNumberE2EEEvNT_8ArgumentE,comdat
.Lfunc_end1:
	.size	_ZN2ck27kernel_gemm_xdl_cshuffle_v3INS_28GridwiseGemm_xdl_cshuffle_v3INS_13tensor_layout4gemm8RowMajorENS3_11ColumnMajorES4_NS_9f8_fnuz_tENS_7pk_i4_tEfDF16_DF16_NS_16tensor_operation12element_wise11PassThroughESA_SA_LNS8_6device18GemmSpecializationE0ELi256ELi128ELi128ELi128ELi16ELi16ELi16ELi16ELi4ELi4ENS_8SequenceIJLi8ELi32ELi1EEEENSD_IJLi1ELi0ELi2EEEESF_Li2ELi16ELi16ELb0ELi0ENSD_IJLi4ELi64ELi1EEEESF_SF_Li2ELi16ELi16ELb0ELi0ELi1ELi1ENSD_IJLi1ELi32ELi1ELi8EEEELi4ELNS_26BlockGemmPipelineSchedulerE1ELNS_24BlockGemmPipelineVersionE1ES6_S6_Lb0ELb1ELb0ELi0ELb0EEELb1ELNS_25InMemoryDataOperationEnumE1ELi2ELNS_10TailNumberE2EEEvNT_8ArgumentE, .Lfunc_end1-_ZN2ck27kernel_gemm_xdl_cshuffle_v3INS_28GridwiseGemm_xdl_cshuffle_v3INS_13tensor_layout4gemm8RowMajorENS3_11ColumnMajorES4_NS_9f8_fnuz_tENS_7pk_i4_tEfDF16_DF16_NS_16tensor_operation12element_wise11PassThroughESA_SA_LNS8_6device18GemmSpecializationE0ELi256ELi128ELi128ELi128ELi16ELi16ELi16ELi16ELi4ELi4ENS_8SequenceIJLi8ELi32ELi1EEEENSD_IJLi1ELi0ELi2EEEESF_Li2ELi16ELi16ELb0ELi0ENSD_IJLi4ELi64ELi1EEEESF_SF_Li2ELi16ELi16ELb0ELi0ELi1ELi1ENSD_IJLi1ELi32ELi1ELi8EEEELi4ELNS_26BlockGemmPipelineSchedulerE1ELNS_24BlockGemmPipelineVersionE1ES6_S6_Lb0ELb1ELb0ELi0ELb0EEELb1ELNS_25InMemoryDataOperationEnumE1ELi2ELNS_10TailNumberE2EEEvNT_8ArgumentE
                                        ; -- End function
	.set _ZN2ck27kernel_gemm_xdl_cshuffle_v3INS_28GridwiseGemm_xdl_cshuffle_v3INS_13tensor_layout4gemm8RowMajorENS3_11ColumnMajorES4_NS_9f8_fnuz_tENS_7pk_i4_tEfDF16_DF16_NS_16tensor_operation12element_wise11PassThroughESA_SA_LNS8_6device18GemmSpecializationE0ELi256ELi128ELi128ELi128ELi16ELi16ELi16ELi16ELi4ELi4ENS_8SequenceIJLi8ELi32ELi1EEEENSD_IJLi1ELi0ELi2EEEESF_Li2ELi16ELi16ELb0ELi0ENSD_IJLi4ELi64ELi1EEEESF_SF_Li2ELi16ELi16ELb0ELi0ELi1ELi1ENSD_IJLi1ELi32ELi1ELi8EEEELi4ELNS_26BlockGemmPipelineSchedulerE1ELNS_24BlockGemmPipelineVersionE1ES6_S6_Lb0ELb1ELb0ELi0ELb0EEELb1ELNS_25InMemoryDataOperationEnumE1ELi2ELNS_10TailNumberE2EEEvNT_8ArgumentE.num_vgpr, 200
	.set _ZN2ck27kernel_gemm_xdl_cshuffle_v3INS_28GridwiseGemm_xdl_cshuffle_v3INS_13tensor_layout4gemm8RowMajorENS3_11ColumnMajorES4_NS_9f8_fnuz_tENS_7pk_i4_tEfDF16_DF16_NS_16tensor_operation12element_wise11PassThroughESA_SA_LNS8_6device18GemmSpecializationE0ELi256ELi128ELi128ELi128ELi16ELi16ELi16ELi16ELi4ELi4ENS_8SequenceIJLi8ELi32ELi1EEEENSD_IJLi1ELi0ELi2EEEESF_Li2ELi16ELi16ELb0ELi0ENSD_IJLi4ELi64ELi1EEEESF_SF_Li2ELi16ELi16ELb0ELi0ELi1ELi1ENSD_IJLi1ELi32ELi1ELi8EEEELi4ELNS_26BlockGemmPipelineSchedulerE1ELNS_24BlockGemmPipelineVersionE1ES6_S6_Lb0ELb1ELb0ELi0ELb0EEELb1ELNS_25InMemoryDataOperationEnumE1ELi2ELNS_10TailNumberE2EEEvNT_8ArgumentE.num_agpr, 0
	.set _ZN2ck27kernel_gemm_xdl_cshuffle_v3INS_28GridwiseGemm_xdl_cshuffle_v3INS_13tensor_layout4gemm8RowMajorENS3_11ColumnMajorES4_NS_9f8_fnuz_tENS_7pk_i4_tEfDF16_DF16_NS_16tensor_operation12element_wise11PassThroughESA_SA_LNS8_6device18GemmSpecializationE0ELi256ELi128ELi128ELi128ELi16ELi16ELi16ELi16ELi4ELi4ENS_8SequenceIJLi8ELi32ELi1EEEENSD_IJLi1ELi0ELi2EEEESF_Li2ELi16ELi16ELb0ELi0ENSD_IJLi4ELi64ELi1EEEESF_SF_Li2ELi16ELi16ELb0ELi0ELi1ELi1ENSD_IJLi1ELi32ELi1ELi8EEEELi4ELNS_26BlockGemmPipelineSchedulerE1ELNS_24BlockGemmPipelineVersionE1ES6_S6_Lb0ELb1ELb0ELi0ELb0EEELb1ELNS_25InMemoryDataOperationEnumE1ELi2ELNS_10TailNumberE2EEEvNT_8ArgumentE.numbered_sgpr, 30
	.set _ZN2ck27kernel_gemm_xdl_cshuffle_v3INS_28GridwiseGemm_xdl_cshuffle_v3INS_13tensor_layout4gemm8RowMajorENS3_11ColumnMajorES4_NS_9f8_fnuz_tENS_7pk_i4_tEfDF16_DF16_NS_16tensor_operation12element_wise11PassThroughESA_SA_LNS8_6device18GemmSpecializationE0ELi256ELi128ELi128ELi128ELi16ELi16ELi16ELi16ELi4ELi4ENS_8SequenceIJLi8ELi32ELi1EEEENSD_IJLi1ELi0ELi2EEEESF_Li2ELi16ELi16ELb0ELi0ENSD_IJLi4ELi64ELi1EEEESF_SF_Li2ELi16ELi16ELb0ELi0ELi1ELi1ENSD_IJLi1ELi32ELi1ELi8EEEELi4ELNS_26BlockGemmPipelineSchedulerE1ELNS_24BlockGemmPipelineVersionE1ES6_S6_Lb0ELb1ELb0ELi0ELb0EEELb1ELNS_25InMemoryDataOperationEnumE1ELi2ELNS_10TailNumberE2EEEvNT_8ArgumentE.num_named_barrier, 0
	.set _ZN2ck27kernel_gemm_xdl_cshuffle_v3INS_28GridwiseGemm_xdl_cshuffle_v3INS_13tensor_layout4gemm8RowMajorENS3_11ColumnMajorES4_NS_9f8_fnuz_tENS_7pk_i4_tEfDF16_DF16_NS_16tensor_operation12element_wise11PassThroughESA_SA_LNS8_6device18GemmSpecializationE0ELi256ELi128ELi128ELi128ELi16ELi16ELi16ELi16ELi4ELi4ENS_8SequenceIJLi8ELi32ELi1EEEENSD_IJLi1ELi0ELi2EEEESF_Li2ELi16ELi16ELb0ELi0ENSD_IJLi4ELi64ELi1EEEESF_SF_Li2ELi16ELi16ELb0ELi0ELi1ELi1ENSD_IJLi1ELi32ELi1ELi8EEEELi4ELNS_26BlockGemmPipelineSchedulerE1ELNS_24BlockGemmPipelineVersionE1ES6_S6_Lb0ELb1ELb0ELi0ELb0EEELb1ELNS_25InMemoryDataOperationEnumE1ELi2ELNS_10TailNumberE2EEEvNT_8ArgumentE.private_seg_size, 0
	.set _ZN2ck27kernel_gemm_xdl_cshuffle_v3INS_28GridwiseGemm_xdl_cshuffle_v3INS_13tensor_layout4gemm8RowMajorENS3_11ColumnMajorES4_NS_9f8_fnuz_tENS_7pk_i4_tEfDF16_DF16_NS_16tensor_operation12element_wise11PassThroughESA_SA_LNS8_6device18GemmSpecializationE0ELi256ELi128ELi128ELi128ELi16ELi16ELi16ELi16ELi4ELi4ENS_8SequenceIJLi8ELi32ELi1EEEENSD_IJLi1ELi0ELi2EEEESF_Li2ELi16ELi16ELb0ELi0ENSD_IJLi4ELi64ELi1EEEESF_SF_Li2ELi16ELi16ELb0ELi0ELi1ELi1ENSD_IJLi1ELi32ELi1ELi8EEEELi4ELNS_26BlockGemmPipelineSchedulerE1ELNS_24BlockGemmPipelineVersionE1ES6_S6_Lb0ELb1ELb0ELi0ELb0EEELb1ELNS_25InMemoryDataOperationEnumE1ELi2ELNS_10TailNumberE2EEEvNT_8ArgumentE.uses_vcc, 1
	.set _ZN2ck27kernel_gemm_xdl_cshuffle_v3INS_28GridwiseGemm_xdl_cshuffle_v3INS_13tensor_layout4gemm8RowMajorENS3_11ColumnMajorES4_NS_9f8_fnuz_tENS_7pk_i4_tEfDF16_DF16_NS_16tensor_operation12element_wise11PassThroughESA_SA_LNS8_6device18GemmSpecializationE0ELi256ELi128ELi128ELi128ELi16ELi16ELi16ELi16ELi4ELi4ENS_8SequenceIJLi8ELi32ELi1EEEENSD_IJLi1ELi0ELi2EEEESF_Li2ELi16ELi16ELb0ELi0ENSD_IJLi4ELi64ELi1EEEESF_SF_Li2ELi16ELi16ELb0ELi0ELi1ELi1ENSD_IJLi1ELi32ELi1ELi8EEEELi4ELNS_26BlockGemmPipelineSchedulerE1ELNS_24BlockGemmPipelineVersionE1ES6_S6_Lb0ELb1ELb0ELi0ELb0EEELb1ELNS_25InMemoryDataOperationEnumE1ELi2ELNS_10TailNumberE2EEEvNT_8ArgumentE.uses_flat_scratch, 0
	.set _ZN2ck27kernel_gemm_xdl_cshuffle_v3INS_28GridwiseGemm_xdl_cshuffle_v3INS_13tensor_layout4gemm8RowMajorENS3_11ColumnMajorES4_NS_9f8_fnuz_tENS_7pk_i4_tEfDF16_DF16_NS_16tensor_operation12element_wise11PassThroughESA_SA_LNS8_6device18GemmSpecializationE0ELi256ELi128ELi128ELi128ELi16ELi16ELi16ELi16ELi4ELi4ENS_8SequenceIJLi8ELi32ELi1EEEENSD_IJLi1ELi0ELi2EEEESF_Li2ELi16ELi16ELb0ELi0ENSD_IJLi4ELi64ELi1EEEESF_SF_Li2ELi16ELi16ELb0ELi0ELi1ELi1ENSD_IJLi1ELi32ELi1ELi8EEEELi4ELNS_26BlockGemmPipelineSchedulerE1ELNS_24BlockGemmPipelineVersionE1ES6_S6_Lb0ELb1ELb0ELi0ELb0EEELb1ELNS_25InMemoryDataOperationEnumE1ELi2ELNS_10TailNumberE2EEEvNT_8ArgumentE.has_dyn_sized_stack, 0
	.set _ZN2ck27kernel_gemm_xdl_cshuffle_v3INS_28GridwiseGemm_xdl_cshuffle_v3INS_13tensor_layout4gemm8RowMajorENS3_11ColumnMajorES4_NS_9f8_fnuz_tENS_7pk_i4_tEfDF16_DF16_NS_16tensor_operation12element_wise11PassThroughESA_SA_LNS8_6device18GemmSpecializationE0ELi256ELi128ELi128ELi128ELi16ELi16ELi16ELi16ELi4ELi4ENS_8SequenceIJLi8ELi32ELi1EEEENSD_IJLi1ELi0ELi2EEEESF_Li2ELi16ELi16ELb0ELi0ENSD_IJLi4ELi64ELi1EEEESF_SF_Li2ELi16ELi16ELb0ELi0ELi1ELi1ENSD_IJLi1ELi32ELi1ELi8EEEELi4ELNS_26BlockGemmPipelineSchedulerE1ELNS_24BlockGemmPipelineVersionE1ES6_S6_Lb0ELb1ELb0ELi0ELb0EEELb1ELNS_25InMemoryDataOperationEnumE1ELi2ELNS_10TailNumberE2EEEvNT_8ArgumentE.has_recursion, 0
	.set _ZN2ck27kernel_gemm_xdl_cshuffle_v3INS_28GridwiseGemm_xdl_cshuffle_v3INS_13tensor_layout4gemm8RowMajorENS3_11ColumnMajorES4_NS_9f8_fnuz_tENS_7pk_i4_tEfDF16_DF16_NS_16tensor_operation12element_wise11PassThroughESA_SA_LNS8_6device18GemmSpecializationE0ELi256ELi128ELi128ELi128ELi16ELi16ELi16ELi16ELi4ELi4ENS_8SequenceIJLi8ELi32ELi1EEEENSD_IJLi1ELi0ELi2EEEESF_Li2ELi16ELi16ELb0ELi0ENSD_IJLi4ELi64ELi1EEEESF_SF_Li2ELi16ELi16ELb0ELi0ELi1ELi1ENSD_IJLi1ELi32ELi1ELi8EEEELi4ELNS_26BlockGemmPipelineSchedulerE1ELNS_24BlockGemmPipelineVersionE1ES6_S6_Lb0ELb1ELb0ELi0ELb0EEELb1ELNS_25InMemoryDataOperationEnumE1ELi2ELNS_10TailNumberE2EEEvNT_8ArgumentE.has_indirect_call, 0
	.section	.AMDGPU.csdata,"",@progbits
; Kernel info:
; codeLenInByte = 16072
; TotalNumSgprs: 36
; NumVgprs: 200
; NumAgprs: 0
; TotalNumVgprs: 200
; ScratchSize: 0
; MemoryBound: 0
; FloatMode: 240
; IeeeMode: 1
; LDSByteSize: 24576 bytes/workgroup (compile time only)
; SGPRBlocks: 12
; VGPRBlocks: 24
; NumSGPRsForWavesPerEU: 97
; NumVGPRsForWavesPerEU: 200
; AccumOffset: 200
; Occupancy: 2
; WaveLimiterHint : 0
; COMPUTE_PGM_RSRC2:SCRATCH_EN: 0
; COMPUTE_PGM_RSRC2:USER_SGPR: 2
; COMPUTE_PGM_RSRC2:TRAP_HANDLER: 0
; COMPUTE_PGM_RSRC2:TGID_X_EN: 1
; COMPUTE_PGM_RSRC2:TGID_Y_EN: 0
; COMPUTE_PGM_RSRC2:TGID_Z_EN: 1
; COMPUTE_PGM_RSRC2:TIDIG_COMP_CNT: 0
; COMPUTE_PGM_RSRC3_GFX90A:ACCUM_OFFSET: 49
; COMPUTE_PGM_RSRC3_GFX90A:TG_SPLIT: 0
	.section	.text._ZN2ck27kernel_gemm_xdl_cshuffle_v3INS_28GridwiseGemm_xdl_cshuffle_v3INS_13tensor_layout4gemm8RowMajorENS3_11ColumnMajorES4_NS_9f8_fnuz_tENS_7pk_i4_tEfDF16_DF16_NS_16tensor_operation12element_wise11PassThroughESA_SA_LNS8_6device18GemmSpecializationE0ELi256ELi128ELi128ELi128ELi16ELi16ELi16ELi16ELi4ELi4ENS_8SequenceIJLi8ELi32ELi1EEEENSD_IJLi1ELi0ELi2EEEESF_Li2ELi16ELi16ELb0ELi0ENSD_IJLi4ELi64ELi1EEEESF_SF_Li2ELi16ELi16ELb0ELi0ELi1ELi1ENSD_IJLi1ELi32ELi1ELi8EEEELi4ELNS_26BlockGemmPipelineSchedulerE1ELNS_24BlockGemmPipelineVersionE1ES6_S6_Lb0ELb1ELb0ELi0ELb0EEELb1ELNS_25InMemoryDataOperationEnumE1ELi2ELNS_10TailNumberE10EEEvNT_8ArgumentE,"axG",@progbits,_ZN2ck27kernel_gemm_xdl_cshuffle_v3INS_28GridwiseGemm_xdl_cshuffle_v3INS_13tensor_layout4gemm8RowMajorENS3_11ColumnMajorES4_NS_9f8_fnuz_tENS_7pk_i4_tEfDF16_DF16_NS_16tensor_operation12element_wise11PassThroughESA_SA_LNS8_6device18GemmSpecializationE0ELi256ELi128ELi128ELi128ELi16ELi16ELi16ELi16ELi4ELi4ENS_8SequenceIJLi8ELi32ELi1EEEENSD_IJLi1ELi0ELi2EEEESF_Li2ELi16ELi16ELb0ELi0ENSD_IJLi4ELi64ELi1EEEESF_SF_Li2ELi16ELi16ELb0ELi0ELi1ELi1ENSD_IJLi1ELi32ELi1ELi8EEEELi4ELNS_26BlockGemmPipelineSchedulerE1ELNS_24BlockGemmPipelineVersionE1ES6_S6_Lb0ELb1ELb0ELi0ELb0EEELb1ELNS_25InMemoryDataOperationEnumE1ELi2ELNS_10TailNumberE10EEEvNT_8ArgumentE,comdat
	.protected	_ZN2ck27kernel_gemm_xdl_cshuffle_v3INS_28GridwiseGemm_xdl_cshuffle_v3INS_13tensor_layout4gemm8RowMajorENS3_11ColumnMajorES4_NS_9f8_fnuz_tENS_7pk_i4_tEfDF16_DF16_NS_16tensor_operation12element_wise11PassThroughESA_SA_LNS8_6device18GemmSpecializationE0ELi256ELi128ELi128ELi128ELi16ELi16ELi16ELi16ELi4ELi4ENS_8SequenceIJLi8ELi32ELi1EEEENSD_IJLi1ELi0ELi2EEEESF_Li2ELi16ELi16ELb0ELi0ENSD_IJLi4ELi64ELi1EEEESF_SF_Li2ELi16ELi16ELb0ELi0ELi1ELi1ENSD_IJLi1ELi32ELi1ELi8EEEELi4ELNS_26BlockGemmPipelineSchedulerE1ELNS_24BlockGemmPipelineVersionE1ES6_S6_Lb0ELb1ELb0ELi0ELb0EEELb1ELNS_25InMemoryDataOperationEnumE1ELi2ELNS_10TailNumberE10EEEvNT_8ArgumentE ; -- Begin function _ZN2ck27kernel_gemm_xdl_cshuffle_v3INS_28GridwiseGemm_xdl_cshuffle_v3INS_13tensor_layout4gemm8RowMajorENS3_11ColumnMajorES4_NS_9f8_fnuz_tENS_7pk_i4_tEfDF16_DF16_NS_16tensor_operation12element_wise11PassThroughESA_SA_LNS8_6device18GemmSpecializationE0ELi256ELi128ELi128ELi128ELi16ELi16ELi16ELi16ELi4ELi4ENS_8SequenceIJLi8ELi32ELi1EEEENSD_IJLi1ELi0ELi2EEEESF_Li2ELi16ELi16ELb0ELi0ENSD_IJLi4ELi64ELi1EEEESF_SF_Li2ELi16ELi16ELb0ELi0ELi1ELi1ENSD_IJLi1ELi32ELi1ELi8EEEELi4ELNS_26BlockGemmPipelineSchedulerE1ELNS_24BlockGemmPipelineVersionE1ES6_S6_Lb0ELb1ELb0ELi0ELb0EEELb1ELNS_25InMemoryDataOperationEnumE1ELi2ELNS_10TailNumberE10EEEvNT_8ArgumentE
	.globl	_ZN2ck27kernel_gemm_xdl_cshuffle_v3INS_28GridwiseGemm_xdl_cshuffle_v3INS_13tensor_layout4gemm8RowMajorENS3_11ColumnMajorES4_NS_9f8_fnuz_tENS_7pk_i4_tEfDF16_DF16_NS_16tensor_operation12element_wise11PassThroughESA_SA_LNS8_6device18GemmSpecializationE0ELi256ELi128ELi128ELi128ELi16ELi16ELi16ELi16ELi4ELi4ENS_8SequenceIJLi8ELi32ELi1EEEENSD_IJLi1ELi0ELi2EEEESF_Li2ELi16ELi16ELb0ELi0ENSD_IJLi4ELi64ELi1EEEESF_SF_Li2ELi16ELi16ELb0ELi0ELi1ELi1ENSD_IJLi1ELi32ELi1ELi8EEEELi4ELNS_26BlockGemmPipelineSchedulerE1ELNS_24BlockGemmPipelineVersionE1ES6_S6_Lb0ELb1ELb0ELi0ELb0EEELb1ELNS_25InMemoryDataOperationEnumE1ELi2ELNS_10TailNumberE10EEEvNT_8ArgumentE
	.p2align	8
	.type	_ZN2ck27kernel_gemm_xdl_cshuffle_v3INS_28GridwiseGemm_xdl_cshuffle_v3INS_13tensor_layout4gemm8RowMajorENS3_11ColumnMajorES4_NS_9f8_fnuz_tENS_7pk_i4_tEfDF16_DF16_NS_16tensor_operation12element_wise11PassThroughESA_SA_LNS8_6device18GemmSpecializationE0ELi256ELi128ELi128ELi128ELi16ELi16ELi16ELi16ELi4ELi4ENS_8SequenceIJLi8ELi32ELi1EEEENSD_IJLi1ELi0ELi2EEEESF_Li2ELi16ELi16ELb0ELi0ENSD_IJLi4ELi64ELi1EEEESF_SF_Li2ELi16ELi16ELb0ELi0ELi1ELi1ENSD_IJLi1ELi32ELi1ELi8EEEELi4ELNS_26BlockGemmPipelineSchedulerE1ELNS_24BlockGemmPipelineVersionE1ES6_S6_Lb0ELb1ELb0ELi0ELb0EEELb1ELNS_25InMemoryDataOperationEnumE1ELi2ELNS_10TailNumberE10EEEvNT_8ArgumentE,@function
_ZN2ck27kernel_gemm_xdl_cshuffle_v3INS_28GridwiseGemm_xdl_cshuffle_v3INS_13tensor_layout4gemm8RowMajorENS3_11ColumnMajorES4_NS_9f8_fnuz_tENS_7pk_i4_tEfDF16_DF16_NS_16tensor_operation12element_wise11PassThroughESA_SA_LNS8_6device18GemmSpecializationE0ELi256ELi128ELi128ELi128ELi16ELi16ELi16ELi16ELi4ELi4ENS_8SequenceIJLi8ELi32ELi1EEEENSD_IJLi1ELi0ELi2EEEESF_Li2ELi16ELi16ELb0ELi0ENSD_IJLi4ELi64ELi1EEEESF_SF_Li2ELi16ELi16ELb0ELi0ELi1ELi1ENSD_IJLi1ELi32ELi1ELi8EEEELi4ELNS_26BlockGemmPipelineSchedulerE1ELNS_24BlockGemmPipelineVersionE1ES6_S6_Lb0ELb1ELb0ELi0ELb0EEELb1ELNS_25InMemoryDataOperationEnumE1ELi2ELNS_10TailNumberE10EEEvNT_8ArgumentE: ; @_ZN2ck27kernel_gemm_xdl_cshuffle_v3INS_28GridwiseGemm_xdl_cshuffle_v3INS_13tensor_layout4gemm8RowMajorENS3_11ColumnMajorES4_NS_9f8_fnuz_tENS_7pk_i4_tEfDF16_DF16_NS_16tensor_operation12element_wise11PassThroughESA_SA_LNS8_6device18GemmSpecializationE0ELi256ELi128ELi128ELi128ELi16ELi16ELi16ELi16ELi4ELi4ENS_8SequenceIJLi8ELi32ELi1EEEENSD_IJLi1ELi0ELi2EEEESF_Li2ELi16ELi16ELb0ELi0ENSD_IJLi4ELi64ELi1EEEESF_SF_Li2ELi16ELi16ELb0ELi0ELi1ELi1ENSD_IJLi1ELi32ELi1ELi8EEEELi4ELNS_26BlockGemmPipelineSchedulerE1ELNS_24BlockGemmPipelineVersionE1ES6_S6_Lb0ELb1ELb0ELi0ELb0EEELb1ELNS_25InMemoryDataOperationEnumE1ELi2ELNS_10TailNumberE10EEEvNT_8ArgumentE
; %bb.0:
	s_load_dwordx8 s[12:19], s[0:1], 0x10
	s_load_dwordx2 s[8:9], s[0:1], 0x60
	s_waitcnt lgkmcnt(0)
	s_load_dword s19, s[0:1], 0x68
	s_load_dword s22, s[0:1], 0x3c
	s_load_dwordx4 s[4:7], s[0:1], 0x50
	s_cmp_gt_i32 s18, 1
	s_cselect_b64 s[10:11], -1, 0
	s_waitcnt lgkmcnt(0)
	s_bitcmp1_b32 s19, 0
	s_cselect_b64 s[20:21], -1, 0
	s_and_b64 s[10:11], s[10:11], s[20:21]
	s_andn2_b64 vcc, exec, s[10:11]
	s_mov_b64 s[10:11], 0
	s_cbranch_vccnz .LBB2_2
; %bb.1:
	s_mul_i32 s10, s12, s3
	s_mul_i32 s10, s10, s13
	s_ashr_i32 s11, s10, 31
.LBB2_2:
	s_load_dword s23, s[0:1], 0x34
	s_add_i32 s20, s12, -1
	s_cmpk_lt_u32 s20, 0x80
	s_mov_b32 s21, 0
	s_cbranch_scc1 .LBB2_6
; %bb.3:
	s_add_i32 s0, s13, -1
	s_cmpk_lt_u32 s0, 0x80
	s_mov_b32 s0, 0
	s_cbranch_scc1 .LBB2_10
; %bb.4:
	s_add_i32 s0, s12, 0x7f
	s_ashr_i32 s1, s0, 31
	s_lshr_b32 s1, s1, 25
	s_add_i32 s0, s0, s1
	s_ashr_i32 s24, s0, 7
	s_add_i32 s0, s13, 0x7f
	s_ashr_i32 s1, s0, 31
	s_lshr_b32 s1, s1, 25
	s_add_i32 s0, s0, s1
	s_ashr_i32 s19, s0, 7
	s_mul_i32 s0, s19, s24
	s_add_i32 s1, s0, 7
	s_ashr_i32 s25, s1, 31
	s_lshr_b32 s25, s25, 29
	s_add_i32 s1, s1, s25
	s_ashr_i32 s25, s1, 3
	s_and_b32 s1, s1, -8
	s_sub_i32 s26, s0, s1
	s_ashr_i32 s0, s2, 31
	s_lshr_b32 s0, s0, 29
	s_add_i32 s28, s2, s0
	s_and_b32 s0, s28, -8
	s_add_i32 s26, s26, 8
	s_sub_i32 s27, s2, s0
	s_cmp_gt_i32 s27, s26
	s_cbranch_scc1 .LBB2_7
; %bb.5:
	s_mul_i32 s2, s25, s27
	s_ashr_i32 s0, s28, 3
	s_cbranch_execz .LBB2_8
	s_branch .LBB2_9
.LBB2_6:
	s_mov_b32 s19, 0
	s_branch .LBB2_11
.LBB2_7:
                                        ; implicit-def: $sgpr2
	s_ashr_i32 s0, s28, 3
.LBB2_8:
	s_add_i32 s1, s25, -1
	s_mul_i32 s1, s1, s27
	s_add_i32 s2, s26, s1
.LBB2_9:
	s_abs_i32 s1, s19
	v_cvt_f32_u32_e32 v1, s1
	s_sub_i32 s26, 0, s1
	s_add_i32 s0, s2, s0
	s_abs_i32 s25, s0
	v_rcp_iflag_f32_e32 v1, v1
	s_xor_b32 s2, s0, s19
	s_ashr_i32 s2, s2, 31
	v_mul_f32_e32 v1, 0x4f7ffffe, v1
	v_cvt_u32_f32_e32 v1, v1
	s_nop 0
	v_readfirstlane_b32 s27, v1
	s_mul_i32 s26, s26, s27
	s_mul_hi_u32 s26, s27, s26
	s_add_i32 s27, s27, s26
	s_mul_hi_u32 s26, s25, s27
	s_mul_i32 s27, s26, s1
	s_sub_i32 s25, s25, s27
	s_add_i32 s28, s26, 1
	s_sub_i32 s27, s25, s1
	s_cmp_ge_u32 s25, s1
	s_cselect_b32 s26, s28, s26
	s_cselect_b32 s25, s27, s25
	s_add_i32 s27, s26, 1
	s_cmp_ge_u32 s25, s1
	s_cselect_b32 s1, s27, s26
	s_xor_b32 s1, s1, s2
	s_lshr_b32 s25, s24, 30
	s_sub_i32 s1, s1, s2
	s_add_i32 s25, s24, s25
	s_mul_i32 s2, s1, s19
	s_sub_i32 s0, s0, s2
	s_and_b32 s2, s25, -4
	s_sub_i32 s24, s24, s2
	s_cmp_ge_i32 s1, s2
	s_cselect_b32 s2, s24, 4
	s_abs_i32 s25, s2
	v_cvt_f32_u32_e32 v1, s25
	s_ashr_i32 s24, s1, 31
	s_lshr_b32 s24, s24, 30
	s_add_i32 s24, s1, s24
	v_rcp_iflag_f32_e32 v1, v1
	s_and_b32 s24, s24, -4
	s_sub_i32 s24, s1, s24
	s_sub_i32 s27, 0, s25
	v_mul_f32_e32 v1, 0x4f7ffffe, v1
	v_cvt_u32_f32_e32 v1, v1
	s_mul_i32 s19, s24, s19
	s_add_i32 s19, s19, s0
	s_abs_i32 s26, s19
	v_readfirstlane_b32 s28, v1
	s_mul_i32 s27, s27, s28
	s_mul_hi_u32 s27, s28, s27
	s_add_i32 s28, s28, s27
	s_mul_hi_u32 s27, s26, s28
	s_mul_i32 s28, s27, s25
	s_xor_b32 s0, s19, s2
	s_sub_i32 s26, s26, s28
	s_ashr_i32 s0, s0, 31
	s_add_i32 s28, s27, 1
	s_sub_i32 s29, s26, s25
	s_cmp_ge_u32 s26, s25
	s_cselect_b32 s27, s28, s27
	s_cselect_b32 s26, s29, s26
	s_add_i32 s28, s27, 1
	s_cmp_ge_u32 s26, s25
	s_cselect_b32 s25, s28, s27
	s_xor_b32 s25, s25, s0
	s_sub_i32 s0, s25, s0
	s_mul_i32 s2, s0, s2
	s_sub_i32 s2, s19, s2
	s_add_i32 s2, s2, s1
	s_sub_i32 s2, s2, s24
.LBB2_10:
	s_mov_b32 s19, s2
	s_mov_b32 s2, s0
.LBB2_11:
	s_waitcnt lgkmcnt(0)
	s_mul_i32 s0, s23, s3
	s_add_i32 s18, s18, -1
	s_mul_i32 s1, s0, s13
	s_mul_i32 s24, s18, s23
	s_lshr_b32 s1, s1, 1
	s_sub_i32 s14, s14, s24
	s_cmp_lt_u32 s3, s18
	s_cselect_b32 s3, s23, s14
	s_ashr_i32 s14, s0, 31
	s_add_u32 s0, s4, s0
	s_addc_u32 s5, s5, s14
	s_add_u32 s4, s6, s1
	s_addc_u32 s7, s7, 0
	s_ashr_i32 s6, s16, 31
	s_lshl_b32 s14, s2, 7
	s_ashr_i32 s2, s22, 31
	s_lshr_b32 s6, s6, 25
	v_lshrrev_b32_e32 v27, 1, v0
	s_lshr_b32 s2, s2, 29
	s_add_i32 s6, s16, s6
	v_and_b32_e32 v1, 0x7c, v27
	s_add_i32 s22, s22, s2
	s_ashr_i32 s6, s6, 7
	s_lshl_b32 s16, s13, 7
	v_and_b32_e32 v26, 7, v0
	v_lshl_or_b32 v30, s19, 7, v1
	s_ashr_i32 s23, s22, 3
	s_mul_i32 s1, s20, s15
	v_lshlrev_b32_e32 v126, 4, v26
	v_mul_lo_u32 v127, v30, s15
	s_add_u32 s2, 0, 0
	v_add_u32_e32 v6, v127, v126
	s_addc_u32 s2, s3, s1
	s_and_b32 s1, s5, 0xffff
	s_mov_b32 s3, 0x20000
	buffer_load_dwordx4 v[2:5], v6, s[0:3], 0 offen
	v_add_u32_e32 v10, s15, v6
	buffer_load_dwordx4 v[6:9], v10, s[0:3], 0 offen
	v_lshlrev_b32_e32 v28, 1, v0
	v_and_b32_e32 v131, 6, v28
	v_and_b32_e32 v11, 0x7e, v27
	v_add_u32_e32 v16, s15, v10
	v_or_b32_e32 v14, s14, v11
	v_lshlrev_b32_e32 v15, 4, v131
	buffer_load_dwordx4 v[10:13], v16, s[0:3], 0 offen
	v_add_u32_e32 v29, s15, v16
	v_or_b32_e32 v21, 1, v131
	v_lshl_or_b32 v20, v14, 7, v15
	buffer_load_dwordx4 v[14:17], v29, s[0:3], 0 offen
	v_sub_u32_e32 v22, v21, v131
	s_mul_i32 s5, s13, s6
	v_lshlrev_b32_e32 v31, 4, v22
	v_ashrrev_i32_e32 v18, 1, v20
	s_lshl_b32 s6, s5, 6
	s_and_b32 s5, s7, 0xffff
	s_mov_b32 s7, s3
	v_add_u32_e32 v24, v20, v31
	v_sub_u32_e32 v20, v131, v21
	buffer_load_dwordx2 v[18:19], v18, s[4:7], 0 offen
	v_add_u32_e32 v22, 0x80, v24
	v_lshlrev_b32_e32 v32, 4, v20
	v_add_u32_e32 v33, v22, v32
	v_ashrrev_i32_e32 v20, 1, v33
	v_ashrrev_i32_e32 v22, 1, v22
	buffer_load_dwordx2 v[20:21], v20, s[4:7], 0 offen
	v_ashrrev_i32_e32 v24, 1, v24
	buffer_load_dwordx2 v[22:23], v22, s[4:7], 0 offen
	v_bitop3_b32 v35, v27, v26, 4 bitop3:0x6c
	buffer_load_dwordx2 v[24:25], v24, s[4:7], 0 offen
	v_lshlrev_b32_e32 v1, 7, v1
	v_and_b32_e32 v34, 4, v27
	v_lshl_or_b32 v36, v35, 4, v1
	v_lshrrev_b32_e32 v115, 2, v0
	v_lshlrev_b32_e32 v37, 1, v131
	v_bitop3_b32 v39, v37, v115, 15 bitop3:0x78
	v_lshlrev_b32_e32 v1, 8, v115
	v_bfe_u32 v38, v0, 2, 4
	v_lshl_or_b32 v142, v39, 4, v1
	s_movk_i32 s22, 0xff00
	s_mul_i32 s18, s15, -3
	v_or3_b32 v140, 0, 0, 0
	s_addk_i32 s18, 0x80
	s_add_i32 s26, s16, 0xffffff80
	v_add_u32_e32 v45, s18, v29
	v_add_u32_e32 v29, s26, v33
	v_and_b32_e32 v114, 15, v0
	v_and_b32_e32 v28, 0x60, v28
	v_lshrrev_b32_e32 v1, 3, v0
	v_and_or_b32 v40, v1, 16, v114
	v_lshrrev_b32_e32 v41, 4, v28
	v_bitop3_b32 v42, v41, v0, 7 bitop3:0x78
	v_lshlrev_b32_e32 v40, 7, v40
	v_and_b32_e32 v116, 16, v115
	v_and_b32_e32 v43, 1, v0
	v_lshrrev_b32_e32 v28, 3, v28
	v_lshl_or_b32 v117, v42, 4, v40
	v_or_b32_e32 v40, v116, v114
	v_or_b32_e32 v44, v28, v43
	v_lshrrev_b32_e32 v40, 1, v40
	v_bitop3_b32 v28, v40, v28, v43 bitop3:0x1e
	v_lshlrev_b32_e32 v43, 8, v40
	v_lshl_or_b32 v43, v28, 4, v43
	s_movk_i32 s18, 0xff80
	s_add_i32 s23, s23, -2
	v_lshrrev_b32_e32 v130, 1, v43
	v_mov_b32_e32 v113, 2
	v_mov_b32_e32 v147, 16
	v_or_b32_e32 v148, 16, v131
	v_or_b32_e32 v149, 17, v131
	v_add_u32_e32 v150, s15, v127
	s_waitcnt vmcnt(7)
	ds_write_b128 v36, v[2:5]
	v_bitop3_b32 v2, v34, v26, 1 bitop3:0x36
	v_sub_u32_e32 v3, v2, v35
	v_lshlrev_b32_e32 v118, 4, v3
	v_add_u32_e32 v136, 0x80, v118
	v_add_u32_e32 v3, v136, v36
	s_waitcnt vmcnt(6)
	ds_write_b128 v3, v[6:9]
	v_bitop3_b32 v6, v34, v26, 2 bitop3:0x36
	v_sub_u32_e32 v2, v6, v2
	v_lshlrev_b32_e32 v119, 4, v2
	v_add_u32_e32 v137, 0x80, v119
	v_add_u32_e32 v2, v137, v3
	v_bitop3_b32 v3, v34, v26, 3 bitop3:0x36
	v_sub_u32_e32 v4, v3, v6
	v_lshlrev_b32_e32 v4, 4, v4
	s_waitcnt vmcnt(5)
	ds_write_b128 v2, v[10:13]
	v_add_u32_e32 v2, v2, v4
	v_add_u32_e32 v7, v136, v137
	s_waitcnt vmcnt(4)
	ds_write_b128 v2, v[14:17] offset:128
	v_sub_u32_e32 v2, v35, v3
	v_add3_u32 v5, v7, v36, v4
	v_lshlrev_b32_e32 v2, 4, v2
	v_add3_u32 v138, v5, v2, s22
	v_lshrrev_b32_e32 v2, 1, v142
	v_bitop3_b32 v3, v37, v38, 1 bitop3:0x36
	s_waitcnt vmcnt(3)
	ds_write_b64 v2, v[18:19] offset:16384
	v_sub_u32_e32 v2, v3, v39
	v_lshlrev_b32_e32 v120, 4, v2
	v_add_u32_e32 v2, v120, v142
	v_ashrrev_i32_e32 v2, 1, v2
	v_bitop3_b32 v8, v37, v38, 3 bitop3:0x36
	s_waitcnt vmcnt(1)
	v_and_b32_e32 v4, 0xffff0000, v23
	v_and_b32_e32 v5, 0xff, v23
	;; [unrolled: 1-line block ×3, first 2 shown]
	ds_write_b64 v2, v[20:21] offset:16384
	v_sub_u32_e32 v2, v8, v39
	v_or3_b32 v4, v10, v4, v5
	v_and_b32_e32 v10, 0xff0000, v22
	v_and_b32_e32 v11, 0xff000000, v22
	v_lshl_add_u32 v9, v2, 4, v142
	v_and_b32_e32 v12, 0xff00, v22
	v_or3_b32 v5, v4, 0, 0
	v_or3_b32 v4, v140, v11, v10
	v_and_b32_e32 v10, 0xff, v22
	v_or3_b32 v4, v4, v12, v10
	v_ashrrev_i32_e32 v9, 1, v9
	ds_write_b64 v9, v[4:5] offset:16384
	v_add_u32_e32 v9, v29, v31
	v_lshrrev_b32_e32 v10, 31, v9
	v_bitop3_b32 v4, v37, v38, 2 bitop3:0x36
	v_add_u32_e32 v10, v9, v10
	v_add_u32_e32 v9, 0x80, v9
	v_sub_u32_e32 v5, v4, v39
	v_lshrrev_b32_e32 v11, 31, v9
	v_lshl_add_u32 v5, v5, 4, v142
	v_add_u32_e32 v11, v9, v11
	v_add_u32_e32 v9, v9, v32
	v_ashrrev_i32_e32 v5, 1, v5
	v_lshrrev_b32_e32 v12, 31, v9
	s_waitcnt vmcnt(0)
	ds_write_b64 v5, v[24:25] offset:16384
	v_ashrrev_i32_e32 v5, 1, v29
	v_add_u32_e32 v12, v9, v12
	v_ashrrev_i32_e32 v10, 1, v10
	v_ashrrev_i32_e32 v11, 1, v11
	;; [unrolled: 1-line block ×3, first 2 shown]
	buffer_load_dwordx2 v[102:103], v5, s[4:7], 0 offen
	buffer_load_dwordx2 v[98:99], v10, s[4:7], 0 offen
	;; [unrolled: 1-line block ×4, first 2 shown]
	v_or_b32_e32 v5, 1, v41
	v_sub_u32_e32 v5, v5, v41
	v_lshl_add_u32 v5, v5, 1, v44
	v_xor_b32_e32 v5, v5, v40
	v_sub_u32_e32 v5, v5, v28
	v_lshlrev_b32_e32 v5, 4, v5
	v_add_u32_e32 v10, v5, v43
	v_ashrrev_i32_e32 v129, 1, v10
	v_or_b32_e32 v10, 0x1000, v43
	v_lshrrev_b32_e32 v128, 1, v10
	v_add_u32_e32 v10, v5, v10
	v_ashrrev_i32_e32 v125, 1, v10
	v_or_b32_e32 v10, 0x2000, v43
	v_lshrrev_b32_e32 v124, 1, v10
	v_add_u32_e32 v10, v5, v10
	v_ashrrev_i32_e32 v123, 1, v10
	v_or_b32_e32 v10, 0x3000, v43
	v_add_u32_e32 v5, v5, v10
	v_ashrrev_i32_e32 v121, 1, v5
	v_or_b32_e32 v5, 3, v27
	v_bitop3_b32 v5, v5, 7, v0 bitop3:0x48
	v_sub_u32_e32 v3, v8, v3
	v_sub_u32_e32 v6, v5, v6
	v_lshlrev_b32_e32 v133, 4, v3
	v_sub_u32_e32 v3, v4, v8
	v_lshlrev_b32_e32 v134, 4, v6
	v_sub_u32_e32 v5, v35, v5
	v_mov_b32_e32 v6, 0xfffffe80
	v_lshlrev_b32_e32 v132, 4, v3
	v_add_u32_e32 v3, s15, v45
	v_lshl_add_u32 v135, v5, 4, v6
	v_add_u32_e32 v5, s15, v3
	v_add_u32_e32 v108, s26, v9
	v_bitop3_b32 v9, v41, v26, 1 bitop3:0x36
	v_lshrrev_b32_e32 v122, 1, v10
	v_add_u32_e32 v6, s15, v5
	buffer_load_dwordx4 v[26:29], v45, s[0:3], 0 offen
	buffer_load_dwordx4 v[22:25], v3, s[0:3], 0 offen
	;; [unrolled: 1-line block ×4, first 2 shown]
	v_add_u32_e32 v141, 0x80, v134
	v_sub_u32_e32 v3, v39, v4
	v_lshlrev_b32_e32 v143, 4, v3
	v_add3_u32 v3, v7, v141, v135
	v_sub_u32_e32 v9, v9, v42
	v_add_u32_e32 v144, v3, v3
	v_or_b32_e32 v3, 3, v30
	v_mov_b32_e32 v2, 0
	v_lshlrev_b32_e32 v9, 4, v9
	v_mul_lo_u32 v145, s15, v3
	v_or_b32_e32 v3, 2, v30
	s_mov_b32 s22, 0xff00
	v_mul_lo_u32 v146, s15, v3
	v_add_u32_e32 v139, v9, v117
	v_mov_b32_e32 v3, v2
	v_mov_b32_e32 v4, v2
	;; [unrolled: 1-line block ×63, first 2 shown]
.LBB2_12:                               ; =>This Inner Loop Header: Depth=1
	s_waitcnt lgkmcnt(0)
	s_barrier
	ds_read_b128 v[82:85], v117
	ds_read_b128 v[90:93], v117 offset:4096
	ds_read_b128 v[86:89], v139
	ds_read_b64 v[106:107], v130 offset:16384
	ds_read_b128 v[94:97], v139 offset:4096
	ds_read_b128 v[156:159], v139 offset:8192
	;; [unrolled: 1-line block ×5, first 2 shown]
	s_waitcnt lgkmcnt(5)
	;;#ASMSTART
	v_cvt_off_f32_i4 v109, v106
v_cvt_off_f32_i4 v110, v106, src0_sel:BYTE_2
v_cvt_pk_fp8_f32 v168, v109, v110
v_cvt_off_f32_i4 v109, v106, src0_sel:BYTE_1
v_cvt_off_f32_i4 v110, v106, src0_sel:BYTE_3
v_cvt_pk_fp8_f32 v169, v109, v110
v_lshrrev_b32 v111, 4, v106
v_cvt_off_f32_i4 v109, v111
v_cvt_off_f32_i4 v110, v111, src0_sel:BYTE_2
v_cvt_pk_fp8_f32 v168, v109, v110, op_sel:[0, 0, 1]
v_cvt_off_f32_i4 v109, v111, src0_sel:BYTE_1
v_cvt_off_f32_i4 v110, v111, src0_sel:BYTE_3
v_cvt_pk_fp8_f32 v169, v109, v110, op_sel:[0, 0, 1]

	;;#ASMEND
	v_add_u32_e32 v151, v126, v127
	;;#ASMSTART
	v_cvt_off_f32_i4 v106, v107
v_cvt_off_f32_i4 v109, v107, src0_sel:BYTE_2
v_cvt_pk_fp8_f32 v170, v106, v109
v_cvt_off_f32_i4 v106, v107, src0_sel:BYTE_1
v_cvt_off_f32_i4 v109, v107, src0_sel:BYTE_3
v_cvt_pk_fp8_f32 v171, v106, v109
v_lshrrev_b32 v110, 4, v107
v_cvt_off_f32_i4 v106, v110
v_cvt_off_f32_i4 v109, v110, src0_sel:BYTE_2
v_cvt_pk_fp8_f32 v170, v106, v109, op_sel:[0, 0, 1]
v_cvt_off_f32_i4 v106, v110, src0_sel:BYTE_1
v_cvt_off_f32_i4 v109, v110, src0_sel:BYTE_3
v_cvt_pk_fp8_f32 v171, v106, v109, op_sel:[0, 0, 1]

	;;#ASMEND
	ds_read_b64 v[106:107], v129 offset:16384
	s_waitcnt lgkmcnt(0)
	;;#ASMSTART
	v_cvt_off_f32_i4 v109, v106
v_cvt_off_f32_i4 v110, v106, src0_sel:BYTE_2
v_cvt_pk_fp8_f32 v172, v109, v110
v_cvt_off_f32_i4 v109, v106, src0_sel:BYTE_1
v_cvt_off_f32_i4 v110, v106, src0_sel:BYTE_3
v_cvt_pk_fp8_f32 v173, v109, v110
v_lshrrev_b32 v111, 4, v106
v_cvt_off_f32_i4 v109, v111
v_cvt_off_f32_i4 v110, v111, src0_sel:BYTE_2
v_cvt_pk_fp8_f32 v172, v109, v110, op_sel:[0, 0, 1]
v_cvt_off_f32_i4 v109, v111, src0_sel:BYTE_1
v_cvt_off_f32_i4 v110, v111, src0_sel:BYTE_3
v_cvt_pk_fp8_f32 v173, v109, v110, op_sel:[0, 0, 1]

	;;#ASMEND
	s_nop 0
	;;#ASMSTART
	v_cvt_off_f32_i4 v106, v107
v_cvt_off_f32_i4 v109, v107, src0_sel:BYTE_2
v_cvt_pk_fp8_f32 v174, v106, v109
v_cvt_off_f32_i4 v106, v107, src0_sel:BYTE_1
v_cvt_off_f32_i4 v109, v107, src0_sel:BYTE_3
v_cvt_pk_fp8_f32 v175, v106, v109
v_lshrrev_b32 v110, 4, v107
v_cvt_off_f32_i4 v106, v110
v_cvt_off_f32_i4 v109, v110, src0_sel:BYTE_2
v_cvt_pk_fp8_f32 v174, v106, v109, op_sel:[0, 0, 1]
v_cvt_off_f32_i4 v106, v110, src0_sel:BYTE_1
v_cvt_off_f32_i4 v109, v110, src0_sel:BYTE_3
v_cvt_pk_fp8_f32 v175, v106, v109, op_sel:[0, 0, 1]

	;;#ASMEND
	ds_read_b64 v[106:107], v128 offset:16384
	s_waitcnt lgkmcnt(0)
	;;#ASMSTART
	v_cvt_off_f32_i4 v109, v106
v_cvt_off_f32_i4 v110, v106, src0_sel:BYTE_2
v_cvt_pk_fp8_f32 v176, v109, v110
v_cvt_off_f32_i4 v109, v106, src0_sel:BYTE_1
v_cvt_off_f32_i4 v110, v106, src0_sel:BYTE_3
v_cvt_pk_fp8_f32 v177, v109, v110
v_lshrrev_b32 v111, 4, v106
v_cvt_off_f32_i4 v109, v111
v_cvt_off_f32_i4 v110, v111, src0_sel:BYTE_2
v_cvt_pk_fp8_f32 v176, v109, v110, op_sel:[0, 0, 1]
v_cvt_off_f32_i4 v109, v111, src0_sel:BYTE_1
v_cvt_off_f32_i4 v110, v111, src0_sel:BYTE_3
v_cvt_pk_fp8_f32 v177, v109, v110, op_sel:[0, 0, 1]

	;;#ASMEND
	s_nop 0
	;; [unrolled: 35-line block ×7, first 2 shown]
	;;#ASMSTART
	v_cvt_off_f32_i4 v106, v107
v_cvt_off_f32_i4 v109, v107, src0_sel:BYTE_2
v_cvt_pk_fp8_f32 v198, v106, v109
v_cvt_off_f32_i4 v106, v107, src0_sel:BYTE_1
v_cvt_off_f32_i4 v109, v107, src0_sel:BYTE_3
v_cvt_pk_fp8_f32 v199, v106, v109
v_lshrrev_b32 v110, 4, v107
v_cvt_off_f32_i4 v106, v110
v_cvt_off_f32_i4 v109, v110, src0_sel:BYTE_2
v_cvt_pk_fp8_f32 v198, v106, v109, op_sel:[0, 0, 1]
v_cvt_off_f32_i4 v106, v110, src0_sel:BYTE_1
v_cvt_off_f32_i4 v109, v110, src0_sel:BYTE_3
v_cvt_pk_fp8_f32 v199, v106, v109, op_sel:[0, 0, 1]

	;;#ASMEND
	; sched_barrier mask(0x00000000)
	s_barrier
	; sched_barrier mask(0x00000000)
	v_mfma_f32_16x16x128_f8f6f4 v[78:81], v[82:89], v[168:175], v[78:81]
	; sched_barrier mask(0x00000000)
	s_setprio 1
	; sched_barrier mask(0x00000000)
	v_mfma_f32_16x16x128_f8f6f4 v[74:77], v[82:89], v[176:183], v[74:77]
	v_mfma_f32_16x16x128_f8f6f4 v[70:73], v[82:89], v[184:191], v[70:73]
	;; [unrolled: 1-line block ×14, first 2 shown]
	; sched_barrier mask(0x00000000)
	s_waitcnt lgkmcnt(0)
	s_barrier
	; sched_barrier mask(0x00000000)
	v_mfma_f32_16x16x128_f8f6f4 v[2:5], v[160:167], v[192:199], v[2:5]
	; sched_barrier mask(0x00000000)
	s_setprio 0
	; sched_barrier mask(0x00000000)
	s_waitcnt vmcnt(3)
	ds_write_b128 v138, v[26:29]
	v_add_u32_e32 v26, v138, v118
	s_waitcnt vmcnt(2)
	ds_write_b128 v26, v[22:25] offset:128
	v_add_u32_e32 v22, v26, v137
	s_waitcnt vmcnt(1)
	ds_write_b128 v22, v[18:21] offset:128
	v_add_u32_e64 v26, 2, s21
	v_sub_u32_e32 v18, v149, v147
	v_sub_u32_e32 v19, v18, v131
	;; [unrolled: 1-line block ×3, first 2 shown]
	v_mul_lo_u32 v20, v20, s16
	v_lshlrev_b32_e32 v19, 4, v19
	v_add3_u32 v19, v20, v108, v19
	v_lshrrev_b32_e32 v20, 31, v19
	v_add_u32_e32 v200, v22, v141
	v_add_u32_e32 v20, v19, v20
	v_add_u32_e32 v19, 0x80, v19
	v_sub_u32_e32 v18, v131, v18
	s_waitcnt vmcnt(0)
	ds_write_b128 v200, v[10:13] offset:128
	v_lshrrev_b32_e32 v11, 31, v108
	v_lshl_add_u32 v27, v18, 4, v19
	v_add_u32_e32 v11, v108, v11
	v_lshrrev_b32_e32 v21, 31, v19
	v_lshrrev_b32_e32 v18, 31, v27
	v_add_u32_e32 v13, v126, v146
	v_ashrrev_i32_e32 v11, 1, v11
	v_add_u32_e32 v21, v19, v21
	v_add_u32_e32 v18, v27, v18
	;; [unrolled: 1-line block ×3, first 2 shown]
	buffer_load_dwordx4 v[94:97], v151, s[0:3], 0 offen offset:256
	buffer_load_dwordx4 v[86:89], v12, s[0:3], 0 offen offset:256
	v_add_u32_e32 v201, v126, v145
	buffer_load_dwordx4 v[90:93], v13, s[0:3], 0 offen offset:256
	buffer_load_dwordx4 v[82:85], v201, s[0:3], 0 offen offset:256
	v_ashrrev_i32_e32 v20, 1, v20
	v_ashrrev_i32_e32 v21, 1, v21
	;; [unrolled: 1-line block ×3, first 2 shown]
	buffer_load_dwordx2 v[110:111], v11, s[4:7], 0 offen
	buffer_load_dwordx2 v[106:107], v20, s[4:7], 0 offen
	;; [unrolled: 1-line block ×4, first 2 shown]
	v_lshrrev_b32_e32 v10, 31, v142
	v_add_u32_e32 v10, v142, v10
	v_ashrrev_i32_e32 v10, 1, v10
	ds_write_b64 v10, v[102:103] offset:16384
	v_add_u32_e32 v10, v142, v120
	v_lshrrev_b32_e32 v11, 31, v10
	v_add_u32_e32 v11, v10, v11
	v_ashrrev_i32_e32 v11, 1, v11
	v_add_u32_e32 v10, v10, v133
	ds_write_b64 v11, v[104:105] offset:16384
	v_lshrrev_b32_e32 v11, 31, v10
	v_add_u32_e32 v28, v10, v132
	v_add_u32_e32 v11, v10, v11
	v_lshrrev_b32_e32 v10, 31, v28
	v_add_u32_e32 v10, v28, v10
	v_ashrrev_i32_e32 v11, 1, v11
	v_ashrrev_i32_e32 v10, 1, v10
	ds_write_b64 v11, v[100:101] offset:16384
	ds_write_b64 v10, v[98:99] offset:16384
	s_waitcnt lgkmcnt(0)
	s_barrier
	ds_read_b128 v[18:21], v117
	ds_read_b128 v[98:101], v117 offset:4096
	ds_read_b128 v[22:25], v139
	ds_read_b64 v[10:11], v130 offset:16384
	ds_read_b128 v[102:105], v139 offset:4096
	ds_read_b128 v[156:159], v139 offset:8192
	;; [unrolled: 1-line block ×5, first 2 shown]
	s_waitcnt lgkmcnt(5)
	;;#ASMSTART
	v_cvt_off_f32_i4 v29, v10
v_cvt_off_f32_i4 v142, v10, src0_sel:BYTE_2
v_cvt_pk_fp8_f32 v168, v29, v142
v_cvt_off_f32_i4 v29, v10, src0_sel:BYTE_1
v_cvt_off_f32_i4 v142, v10, src0_sel:BYTE_3
v_cvt_pk_fp8_f32 v169, v29, v142
v_lshrrev_b32 v170, 4, v10
v_cvt_off_f32_i4 v29, v170
v_cvt_off_f32_i4 v142, v170, src0_sel:BYTE_2
v_cvt_pk_fp8_f32 v168, v29, v142, op_sel:[0, 0, 1]
v_cvt_off_f32_i4 v29, v170, src0_sel:BYTE_1
v_cvt_off_f32_i4 v142, v170, src0_sel:BYTE_3
v_cvt_pk_fp8_f32 v169, v29, v142, op_sel:[0, 0, 1]

	;;#ASMEND
	v_add_u32_e32 v202, v28, v143
	;;#ASMSTART
	v_cvt_off_f32_i4 v10, v11
v_cvt_off_f32_i4 v29, v11, src0_sel:BYTE_2
v_cvt_pk_fp8_f32 v170, v10, v29
v_cvt_off_f32_i4 v10, v11, src0_sel:BYTE_1
v_cvt_off_f32_i4 v29, v11, src0_sel:BYTE_3
v_cvt_pk_fp8_f32 v171, v10, v29
v_lshrrev_b32 v142, 4, v11
v_cvt_off_f32_i4 v10, v142
v_cvt_off_f32_i4 v29, v142, src0_sel:BYTE_2
v_cvt_pk_fp8_f32 v170, v10, v29, op_sel:[0, 0, 1]
v_cvt_off_f32_i4 v10, v142, src0_sel:BYTE_1
v_cvt_off_f32_i4 v29, v142, src0_sel:BYTE_3
v_cvt_pk_fp8_f32 v171, v10, v29, op_sel:[0, 0, 1]

	;;#ASMEND
	ds_read_b64 v[10:11], v129 offset:16384
	s_waitcnt lgkmcnt(0)
	;;#ASMSTART
	v_cvt_off_f32_i4 v29, v10
v_cvt_off_f32_i4 v142, v10, src0_sel:BYTE_2
v_cvt_pk_fp8_f32 v172, v29, v142
v_cvt_off_f32_i4 v29, v10, src0_sel:BYTE_1
v_cvt_off_f32_i4 v142, v10, src0_sel:BYTE_3
v_cvt_pk_fp8_f32 v173, v29, v142
v_lshrrev_b32 v174, 4, v10
v_cvt_off_f32_i4 v29, v174
v_cvt_off_f32_i4 v142, v174, src0_sel:BYTE_2
v_cvt_pk_fp8_f32 v172, v29, v142, op_sel:[0, 0, 1]
v_cvt_off_f32_i4 v29, v174, src0_sel:BYTE_1
v_cvt_off_f32_i4 v142, v174, src0_sel:BYTE_3
v_cvt_pk_fp8_f32 v173, v29, v142, op_sel:[0, 0, 1]

	;;#ASMEND
	v_add_u32_e64 v203, 3, s21
	;;#ASMSTART
	v_cvt_off_f32_i4 v10, v11
v_cvt_off_f32_i4 v29, v11, src0_sel:BYTE_2
v_cvt_pk_fp8_f32 v174, v10, v29
v_cvt_off_f32_i4 v10, v11, src0_sel:BYTE_1
v_cvt_off_f32_i4 v29, v11, src0_sel:BYTE_3
v_cvt_pk_fp8_f32 v175, v10, v29
v_lshrrev_b32 v142, 4, v11
v_cvt_off_f32_i4 v10, v142
v_cvt_off_f32_i4 v29, v142, src0_sel:BYTE_2
v_cvt_pk_fp8_f32 v174, v10, v29, op_sel:[0, 0, 1]
v_cvt_off_f32_i4 v10, v142, src0_sel:BYTE_1
v_cvt_off_f32_i4 v29, v142, src0_sel:BYTE_3
v_cvt_pk_fp8_f32 v175, v10, v29, op_sel:[0, 0, 1]

	;;#ASMEND
	ds_read_b64 v[10:11], v128 offset:16384
	s_waitcnt lgkmcnt(0)
	;;#ASMSTART
	v_cvt_off_f32_i4 v29, v10
v_cvt_off_f32_i4 v142, v10, src0_sel:BYTE_2
v_cvt_pk_fp8_f32 v176, v29, v142
v_cvt_off_f32_i4 v29, v10, src0_sel:BYTE_1
v_cvt_off_f32_i4 v142, v10, src0_sel:BYTE_3
v_cvt_pk_fp8_f32 v177, v29, v142
v_lshrrev_b32 v178, 4, v10
v_cvt_off_f32_i4 v29, v178
v_cvt_off_f32_i4 v142, v178, src0_sel:BYTE_2
v_cvt_pk_fp8_f32 v176, v29, v142, op_sel:[0, 0, 1]
v_cvt_off_f32_i4 v29, v178, src0_sel:BYTE_1
v_cvt_off_f32_i4 v142, v178, src0_sel:BYTE_3
v_cvt_pk_fp8_f32 v177, v29, v142, op_sel:[0, 0, 1]

	;;#ASMEND
	v_sub_u32_e32 v26, v203, v26
	;;#ASMSTART
	v_cvt_off_f32_i4 v10, v11
v_cvt_off_f32_i4 v29, v11, src0_sel:BYTE_2
v_cvt_pk_fp8_f32 v178, v10, v29
v_cvt_off_f32_i4 v10, v11, src0_sel:BYTE_1
v_cvt_off_f32_i4 v29, v11, src0_sel:BYTE_3
v_cvt_pk_fp8_f32 v179, v10, v29
v_lshrrev_b32 v142, 4, v11
v_cvt_off_f32_i4 v10, v142
v_cvt_off_f32_i4 v29, v142, src0_sel:BYTE_2
v_cvt_pk_fp8_f32 v178, v10, v29, op_sel:[0, 0, 1]
v_cvt_off_f32_i4 v10, v142, src0_sel:BYTE_1
v_cvt_off_f32_i4 v29, v142, src0_sel:BYTE_3
v_cvt_pk_fp8_f32 v179, v10, v29, op_sel:[0, 0, 1]

	;;#ASMEND
	ds_read_b64 v[10:11], v125 offset:16384
	s_waitcnt lgkmcnt(0)
	;;#ASMSTART
	v_cvt_off_f32_i4 v29, v10
v_cvt_off_f32_i4 v142, v10, src0_sel:BYTE_2
v_cvt_pk_fp8_f32 v180, v29, v142
v_cvt_off_f32_i4 v29, v10, src0_sel:BYTE_1
v_cvt_off_f32_i4 v142, v10, src0_sel:BYTE_3
v_cvt_pk_fp8_f32 v181, v29, v142
v_lshrrev_b32 v182, 4, v10
v_cvt_off_f32_i4 v29, v182
v_cvt_off_f32_i4 v142, v182, src0_sel:BYTE_2
v_cvt_pk_fp8_f32 v180, v29, v142, op_sel:[0, 0, 1]
v_cvt_off_f32_i4 v29, v182, src0_sel:BYTE_1
v_cvt_off_f32_i4 v142, v182, src0_sel:BYTE_3
v_cvt_pk_fp8_f32 v181, v29, v142, op_sel:[0, 0, 1]

	;;#ASMEND
	v_mul_lo_u32 v26, v26, s16
	;;#ASMSTART
	v_cvt_off_f32_i4 v10, v11
v_cvt_off_f32_i4 v29, v11, src0_sel:BYTE_2
v_cvt_pk_fp8_f32 v182, v10, v29
v_cvt_off_f32_i4 v10, v11, src0_sel:BYTE_1
v_cvt_off_f32_i4 v29, v11, src0_sel:BYTE_3
v_cvt_pk_fp8_f32 v183, v10, v29
v_lshrrev_b32 v142, 4, v11
v_cvt_off_f32_i4 v10, v142
v_cvt_off_f32_i4 v29, v142, src0_sel:BYTE_2
v_cvt_pk_fp8_f32 v182, v10, v29, op_sel:[0, 0, 1]
v_cvt_off_f32_i4 v10, v142, src0_sel:BYTE_1
v_cvt_off_f32_i4 v29, v142, src0_sel:BYTE_3
v_cvt_pk_fp8_f32 v183, v10, v29, op_sel:[0, 0, 1]

	;;#ASMEND
	ds_read_b64 v[10:11], v124 offset:16384
	s_waitcnt lgkmcnt(0)
	;;#ASMSTART
	v_cvt_off_f32_i4 v29, v10
v_cvt_off_f32_i4 v142, v10, src0_sel:BYTE_2
v_cvt_pk_fp8_f32 v184, v29, v142
v_cvt_off_f32_i4 v29, v10, src0_sel:BYTE_1
v_cvt_off_f32_i4 v142, v10, src0_sel:BYTE_3
v_cvt_pk_fp8_f32 v185, v29, v142
v_lshrrev_b32 v186, 4, v10
v_cvt_off_f32_i4 v29, v186
v_cvt_off_f32_i4 v142, v186, src0_sel:BYTE_2
v_cvt_pk_fp8_f32 v184, v29, v142, op_sel:[0, 0, 1]
v_cvt_off_f32_i4 v29, v186, src0_sel:BYTE_1
v_cvt_off_f32_i4 v142, v186, src0_sel:BYTE_3
v_cvt_pk_fp8_f32 v185, v29, v142, op_sel:[0, 0, 1]

	;;#ASMEND
	s_nop 0
	;;#ASMSTART
	v_cvt_off_f32_i4 v10, v11
v_cvt_off_f32_i4 v29, v11, src0_sel:BYTE_2
v_cvt_pk_fp8_f32 v186, v10, v29
v_cvt_off_f32_i4 v10, v11, src0_sel:BYTE_1
v_cvt_off_f32_i4 v29, v11, src0_sel:BYTE_3
v_cvt_pk_fp8_f32 v187, v10, v29
v_lshrrev_b32 v142, 4, v11
v_cvt_off_f32_i4 v10, v142
v_cvt_off_f32_i4 v29, v142, src0_sel:BYTE_2
v_cvt_pk_fp8_f32 v186, v10, v29, op_sel:[0, 0, 1]
v_cvt_off_f32_i4 v10, v142, src0_sel:BYTE_1
v_cvt_off_f32_i4 v29, v142, src0_sel:BYTE_3
v_cvt_pk_fp8_f32 v187, v10, v29, op_sel:[0, 0, 1]

	;;#ASMEND
	ds_read_b64 v[10:11], v123 offset:16384
	s_waitcnt lgkmcnt(0)
	;;#ASMSTART
	v_cvt_off_f32_i4 v29, v10
v_cvt_off_f32_i4 v142, v10, src0_sel:BYTE_2
v_cvt_pk_fp8_f32 v188, v29, v142
v_cvt_off_f32_i4 v29, v10, src0_sel:BYTE_1
v_cvt_off_f32_i4 v142, v10, src0_sel:BYTE_3
v_cvt_pk_fp8_f32 v189, v29, v142
v_lshrrev_b32 v190, 4, v10
v_cvt_off_f32_i4 v29, v190
v_cvt_off_f32_i4 v142, v190, src0_sel:BYTE_2
v_cvt_pk_fp8_f32 v188, v29, v142, op_sel:[0, 0, 1]
v_cvt_off_f32_i4 v29, v190, src0_sel:BYTE_1
v_cvt_off_f32_i4 v142, v190, src0_sel:BYTE_3
v_cvt_pk_fp8_f32 v189, v29, v142, op_sel:[0, 0, 1]

	;;#ASMEND
	s_nop 0
	;; [unrolled: 35-line block ×3, first 2 shown]
	;;#ASMSTART
	v_cvt_off_f32_i4 v10, v11
v_cvt_off_f32_i4 v28, v11, src0_sel:BYTE_2
v_cvt_pk_fp8_f32 v194, v10, v28
v_cvt_off_f32_i4 v10, v11, src0_sel:BYTE_1
v_cvt_off_f32_i4 v28, v11, src0_sel:BYTE_3
v_cvt_pk_fp8_f32 v195, v10, v28
v_lshrrev_b32 v29, 4, v11
v_cvt_off_f32_i4 v10, v29
v_cvt_off_f32_i4 v28, v29, src0_sel:BYTE_2
v_cvt_pk_fp8_f32 v194, v10, v28, op_sel:[0, 0, 1]
v_cvt_off_f32_i4 v10, v29, src0_sel:BYTE_1
v_cvt_off_f32_i4 v28, v29, src0_sel:BYTE_3
v_cvt_pk_fp8_f32 v195, v10, v28, op_sel:[0, 0, 1]

	;;#ASMEND
	ds_read_b64 v[10:11], v121 offset:16384
	v_add3_u32 v142, v26, v27, s18
	s_waitcnt lgkmcnt(0)
	;;#ASMSTART
	v_cvt_off_f32_i4 v26, v10
v_cvt_off_f32_i4 v27, v10, src0_sel:BYTE_2
v_cvt_pk_fp8_f32 v196, v26, v27
v_cvt_off_f32_i4 v26, v10, src0_sel:BYTE_1
v_cvt_off_f32_i4 v27, v10, src0_sel:BYTE_3
v_cvt_pk_fp8_f32 v197, v26, v27
v_lshrrev_b32 v28, 4, v10
v_cvt_off_f32_i4 v26, v28
v_cvt_off_f32_i4 v27, v28, src0_sel:BYTE_2
v_cvt_pk_fp8_f32 v196, v26, v27, op_sel:[0, 0, 1]
v_cvt_off_f32_i4 v26, v28, src0_sel:BYTE_1
v_cvt_off_f32_i4 v27, v28, src0_sel:BYTE_3
v_cvt_pk_fp8_f32 v197, v26, v27, op_sel:[0, 0, 1]

	;;#ASMEND
	s_nop 0
	;;#ASMSTART
	v_cvt_off_f32_i4 v10, v11
v_cvt_off_f32_i4 v26, v11, src0_sel:BYTE_2
v_cvt_pk_fp8_f32 v198, v10, v26
v_cvt_off_f32_i4 v10, v11, src0_sel:BYTE_1
v_cvt_off_f32_i4 v26, v11, src0_sel:BYTE_3
v_cvt_pk_fp8_f32 v199, v10, v26
v_lshrrev_b32 v27, 4, v11
v_cvt_off_f32_i4 v10, v27
v_cvt_off_f32_i4 v26, v27, src0_sel:BYTE_2
v_cvt_pk_fp8_f32 v198, v10, v26, op_sel:[0, 0, 1]
v_cvt_off_f32_i4 v10, v27, src0_sel:BYTE_1
v_cvt_off_f32_i4 v26, v27, src0_sel:BYTE_3
v_cvt_pk_fp8_f32 v199, v10, v26, op_sel:[0, 0, 1]

	;;#ASMEND
	; sched_barrier mask(0x00000000)
	s_barrier
	; sched_barrier mask(0x00000000)
	v_mfma_f32_16x16x128_f8f6f4 v[78:81], v[18:25], v[168:175], v[78:81]
	; sched_barrier mask(0x00000000)
	s_setprio 1
	; sched_barrier mask(0x00000000)
	v_mfma_f32_16x16x128_f8f6f4 v[74:77], v[18:25], v[176:183], v[74:77]
	v_mfma_f32_16x16x128_f8f6f4 v[70:73], v[18:25], v[184:191], v[70:73]
	;; [unrolled: 1-line block ×14, first 2 shown]
	; sched_barrier mask(0x00000000)
	s_waitcnt lgkmcnt(0)
	s_barrier
	; sched_barrier mask(0x00000000)
	v_mfma_f32_16x16x128_f8f6f4 v[2:5], v[160:167], v[192:199], v[2:5]
	; sched_barrier mask(0x00000000)
	s_setprio 0
	; sched_barrier mask(0x00000000)
	v_lshrrev_b32_e32 v98, 31, v142
	v_sub_u32_e32 v100, v203, v203
	v_add_u32_e32 v101, v142, v98
	v_mad_u64_u32 v[98:99], s[24:25], v100, s16, v[142:143]
	v_mul_lo_u32 v99, v100, s16
	v_ashrrev_i32_e32 v100, 1, v101
	v_add_u32_e32 v101, 16, v98
	v_add_u32_e32 v98, 0x90, v98
	buffer_load_dwordx4 v[26:29], v151, s[0:3], 0 offen offset:384
	buffer_load_dwordx4 v[22:25], v12, s[0:3], 0 offen offset:384
	;; [unrolled: 1-line block ×3, first 2 shown]
	s_nop 0
	buffer_load_dwordx4 v[10:13], v201, s[0:3], 0 offen offset:384
	buffer_load_dwordx2 v[102:103], v100, s[4:7], 0 offen
	v_lshrrev_b32_e32 v100, 31, v101
	v_lshrrev_b32_e32 v104, 31, v98
	v_add3_u32 v151, v99, v98, -16
	v_add_u32_e32 v99, v101, v100
	v_add_u32_e32 v98, v98, v104
	v_lshrrev_b32_e32 v100, 31, v151
	v_ashrrev_i32_e32 v101, 1, v98
	v_add_u32_e32 v98, v151, v100
	v_ashrrev_i32_e32 v99, 1, v99
	v_ashrrev_i32_e32 v104, 1, v98
	buffer_load_dwordx2 v[98:99], v99, s[4:7], 0 offen
	s_nop 0
	buffer_load_dwordx2 v[100:101], v101, s[4:7], 0 offen
	s_nop 0
	buffer_load_dwordx2 v[104:105], v104, s[4:7], 0 offen
	v_add_u32_e32 v142, v200, v135
	v_add_u32_e32 v153, v202, v120
	v_lshrrev_b32_e32 v152, 31, v202
	s_waitcnt vmcnt(9)
	v_and_b32_e32 v154, 0xffff0000, v113
	v_and_b32_e32 v155, 0xff, v113
	;; [unrolled: 1-line block ×5, first 2 shown]
	ds_write_b128 v142, v[94:97] offset:128
	v_add_u32_e32 v94, v142, v118
	v_add3_u32 v95, v142, v136, v137
	v_lshrrev_b32_e32 v97, 31, v153
	v_add_u32_e32 v142, v153, v133
	v_add_u32_e64 v158, 4, s21
	v_add_u32_e32 v96, v202, v152
	v_or3_b32 v152, v113, v154, v155
	v_or3_b32 v154, v140, v157, v156
	ds_write_b128 v94, v[86:89] offset:256
	ds_write_b128 v95, v[90:93] offset:128
	v_add_u32_e32 v86, v95, v141
	v_add_u32_e32 v88, v153, v97
	v_lshrrev_b32_e32 v91, 31, v142
	v_add_u32_e32 v92, v142, v132
	v_sub_u32_e32 v155, v158, v203
	v_ashrrev_i32_e32 v87, 1, v96
	v_and_or_b32 v90, v112, s22, v154
	ds_write_b128 v86, v[82:85] offset:128
	ds_write_b64 v87, v[110:111] offset:16384
	v_ashrrev_i32_e32 v82, 1, v88
	v_add_u32_e32 v83, v142, v91
	v_lshrrev_b32_e32 v84, 31, v92
	v_add_u32_e32 v148, 16, v148
	s_add_i32 s21, s21, 2
	v_or3_b32 v89, v152, 0, 0
	v_mul_lo_u32 v93, v155, s16
	v_or_b32_sdwa v88, v90, v112 dst_sel:DWORD dst_unused:UNUSED_PAD src0_sel:DWORD src1_sel:BYTE_0
	s_waitcnt vmcnt(8)
	ds_write_b64 v82, v[108:109] offset:16384
	v_ashrrev_i32_e32 v82, 1, v83
	v_add_u32_e32 v83, v92, v84
	v_add_u32_e32 v138, v138, v144
	;; [unrolled: 1-line block ×8, first 2 shown]
	v_lshrrev_b32_e32 v113, 3, v148
	s_cmp_lt_i32 s21, s23
	v_add_u32_e32 v142, v92, v143
	v_add3_u32 v108, v93, v151, s18
	ds_write_b64 v82, v[88:89] offset:16384
	v_ashrrev_i32_e32 v82, 1, v83
	ds_write_b64 v82, v[106:107] offset:16384
	s_cbranch_scc1 .LBB2_12
; %bb.13:
	s_waitcnt lgkmcnt(0)
	s_barrier
	ds_read_b128 v[88:91], v117
	ds_read_b128 v[106:109], v117 offset:4096
	ds_read_b128 v[92:95], v139
	ds_read_b64 v[82:83], v130 offset:16384
	ds_read_b128 v[110:113], v139 offset:4096
	ds_read_b128 v[148:151], v139 offset:8192
	;; [unrolled: 1-line block ×5, first 2 shown]
	s_waitcnt lgkmcnt(5)
	;;#ASMSTART
	v_cvt_off_f32_i4 v84, v82
v_cvt_off_f32_i4 v85, v82, src0_sel:BYTE_2
v_cvt_pk_fp8_f32 v160, v84, v85
v_cvt_off_f32_i4 v84, v82, src0_sel:BYTE_1
v_cvt_off_f32_i4 v85, v82, src0_sel:BYTE_3
v_cvt_pk_fp8_f32 v161, v84, v85
v_lshrrev_b32 v87, 4, v82
v_cvt_off_f32_i4 v84, v87
v_cvt_off_f32_i4 v85, v87, src0_sel:BYTE_2
v_cvt_pk_fp8_f32 v160, v84, v85, op_sel:[0, 0, 1]
v_cvt_off_f32_i4 v84, v87, src0_sel:BYTE_1
v_cvt_off_f32_i4 v85, v87, src0_sel:BYTE_3
v_cvt_pk_fp8_f32 v161, v84, v85, op_sel:[0, 0, 1]

	;;#ASMEND
	s_lshl_b64 s[0:1], s[10:11], 1
	;;#ASMSTART
	v_cvt_off_f32_i4 v82, v83
v_cvt_off_f32_i4 v84, v83, src0_sel:BYTE_2
v_cvt_pk_fp8_f32 v162, v82, v84
v_cvt_off_f32_i4 v82, v83, src0_sel:BYTE_1
v_cvt_off_f32_i4 v84, v83, src0_sel:BYTE_3
v_cvt_pk_fp8_f32 v163, v82, v84
v_lshrrev_b32 v85, 4, v83
v_cvt_off_f32_i4 v82, v85
v_cvt_off_f32_i4 v84, v85, src0_sel:BYTE_2
v_cvt_pk_fp8_f32 v162, v82, v84, op_sel:[0, 0, 1]
v_cvt_off_f32_i4 v82, v85, src0_sel:BYTE_1
v_cvt_off_f32_i4 v84, v85, src0_sel:BYTE_3
v_cvt_pk_fp8_f32 v163, v82, v84, op_sel:[0, 0, 1]

	;;#ASMEND
	ds_read_b64 v[82:83], v129 offset:16384
	s_waitcnt lgkmcnt(0)
	;;#ASMSTART
	v_cvt_off_f32_i4 v84, v82
v_cvt_off_f32_i4 v85, v82, src0_sel:BYTE_2
v_cvt_pk_fp8_f32 v164, v84, v85
v_cvt_off_f32_i4 v84, v82, src0_sel:BYTE_1
v_cvt_off_f32_i4 v85, v82, src0_sel:BYTE_3
v_cvt_pk_fp8_f32 v165, v84, v85
v_lshrrev_b32 v87, 4, v82
v_cvt_off_f32_i4 v84, v87
v_cvt_off_f32_i4 v85, v87, src0_sel:BYTE_2
v_cvt_pk_fp8_f32 v164, v84, v85, op_sel:[0, 0, 1]
v_cvt_off_f32_i4 v84, v87, src0_sel:BYTE_1
v_cvt_off_f32_i4 v85, v87, src0_sel:BYTE_3
v_cvt_pk_fp8_f32 v165, v84, v85, op_sel:[0, 0, 1]

	;;#ASMEND
	s_mul_i32 s2, s20, s17
	;;#ASMSTART
	v_cvt_off_f32_i4 v82, v83
v_cvt_off_f32_i4 v84, v83, src0_sel:BYTE_2
v_cvt_pk_fp8_f32 v166, v82, v84
v_cvt_off_f32_i4 v82, v83, src0_sel:BYTE_1
v_cvt_off_f32_i4 v84, v83, src0_sel:BYTE_3
v_cvt_pk_fp8_f32 v167, v82, v84
v_lshrrev_b32 v85, 4, v83
v_cvt_off_f32_i4 v82, v85
v_cvt_off_f32_i4 v84, v85, src0_sel:BYTE_2
v_cvt_pk_fp8_f32 v166, v82, v84, op_sel:[0, 0, 1]
v_cvt_off_f32_i4 v82, v85, src0_sel:BYTE_1
v_cvt_off_f32_i4 v84, v85, src0_sel:BYTE_3
v_cvt_pk_fp8_f32 v167, v82, v84, op_sel:[0, 0, 1]

	;;#ASMEND
	ds_read_b64 v[82:83], v128 offset:16384
	s_waitcnt lgkmcnt(0)
	;;#ASMSTART
	v_cvt_off_f32_i4 v84, v82
v_cvt_off_f32_i4 v85, v82, src0_sel:BYTE_2
v_cvt_pk_fp8_f32 v168, v84, v85
v_cvt_off_f32_i4 v84, v82, src0_sel:BYTE_1
v_cvt_off_f32_i4 v85, v82, src0_sel:BYTE_3
v_cvt_pk_fp8_f32 v169, v84, v85
v_lshrrev_b32 v87, 4, v82
v_cvt_off_f32_i4 v84, v87
v_cvt_off_f32_i4 v85, v87, src0_sel:BYTE_2
v_cvt_pk_fp8_f32 v168, v84, v85, op_sel:[0, 0, 1]
v_cvt_off_f32_i4 v84, v87, src0_sel:BYTE_1
v_cvt_off_f32_i4 v85, v87, src0_sel:BYTE_3
v_cvt_pk_fp8_f32 v169, v84, v85, op_sel:[0, 0, 1]

	;;#ASMEND
	s_mul_hi_u32 s3, 0, s17
	;;#ASMSTART
	v_cvt_off_f32_i4 v82, v83
v_cvt_off_f32_i4 v84, v83, src0_sel:BYTE_2
v_cvt_pk_fp8_f32 v170, v82, v84
v_cvt_off_f32_i4 v82, v83, src0_sel:BYTE_1
v_cvt_off_f32_i4 v84, v83, src0_sel:BYTE_3
v_cvt_pk_fp8_f32 v171, v82, v84
v_lshrrev_b32 v85, 4, v83
v_cvt_off_f32_i4 v82, v85
v_cvt_off_f32_i4 v84, v85, src0_sel:BYTE_2
v_cvt_pk_fp8_f32 v170, v82, v84, op_sel:[0, 0, 1]
v_cvt_off_f32_i4 v82, v85, src0_sel:BYTE_1
v_cvt_off_f32_i4 v84, v85, src0_sel:BYTE_3
v_cvt_pk_fp8_f32 v171, v82, v84, op_sel:[0, 0, 1]

	;;#ASMEND
	ds_read_b64 v[82:83], v125 offset:16384
	s_waitcnt lgkmcnt(0)
	;;#ASMSTART
	v_cvt_off_f32_i4 v84, v82
v_cvt_off_f32_i4 v85, v82, src0_sel:BYTE_2
v_cvt_pk_fp8_f32 v172, v84, v85
v_cvt_off_f32_i4 v84, v82, src0_sel:BYTE_1
v_cvt_off_f32_i4 v85, v82, src0_sel:BYTE_3
v_cvt_pk_fp8_f32 v173, v84, v85
v_lshrrev_b32 v87, 4, v82
v_cvt_off_f32_i4 v84, v87
v_cvt_off_f32_i4 v85, v87, src0_sel:BYTE_2
v_cvt_pk_fp8_f32 v172, v84, v85, op_sel:[0, 0, 1]
v_cvt_off_f32_i4 v84, v87, src0_sel:BYTE_1
v_cvt_off_f32_i4 v85, v87, src0_sel:BYTE_3
v_cvt_pk_fp8_f32 v173, v84, v85, op_sel:[0, 0, 1]

	;;#ASMEND
	s_add_u32 s20, s8, s0
	;;#ASMSTART
	v_cvt_off_f32_i4 v82, v83
v_cvt_off_f32_i4 v84, v83, src0_sel:BYTE_2
v_cvt_pk_fp8_f32 v174, v82, v84
v_cvt_off_f32_i4 v82, v83, src0_sel:BYTE_1
v_cvt_off_f32_i4 v84, v83, src0_sel:BYTE_3
v_cvt_pk_fp8_f32 v175, v82, v84
v_lshrrev_b32 v85, 4, v83
v_cvt_off_f32_i4 v82, v85
v_cvt_off_f32_i4 v84, v85, src0_sel:BYTE_2
v_cvt_pk_fp8_f32 v174, v82, v84, op_sel:[0, 0, 1]
v_cvt_off_f32_i4 v82, v85, src0_sel:BYTE_1
v_cvt_off_f32_i4 v84, v85, src0_sel:BYTE_3
v_cvt_pk_fp8_f32 v175, v82, v84, op_sel:[0, 0, 1]

	;;#ASMEND
	ds_read_b64 v[82:83], v124 offset:16384
	s_waitcnt lgkmcnt(0)
	;;#ASMSTART
	v_cvt_off_f32_i4 v84, v82
v_cvt_off_f32_i4 v85, v82, src0_sel:BYTE_2
v_cvt_pk_fp8_f32 v176, v84, v85
v_cvt_off_f32_i4 v84, v82, src0_sel:BYTE_1
v_cvt_off_f32_i4 v85, v82, src0_sel:BYTE_3
v_cvt_pk_fp8_f32 v177, v84, v85
v_lshrrev_b32 v87, 4, v82
v_cvt_off_f32_i4 v84, v87
v_cvt_off_f32_i4 v85, v87, src0_sel:BYTE_2
v_cvt_pk_fp8_f32 v176, v84, v85, op_sel:[0, 0, 1]
v_cvt_off_f32_i4 v84, v87, src0_sel:BYTE_1
v_cvt_off_f32_i4 v85, v87, src0_sel:BYTE_3
v_cvt_pk_fp8_f32 v177, v84, v85, op_sel:[0, 0, 1]

	;;#ASMEND
	s_addc_u32 s21, s9, s1
	;;#ASMSTART
	v_cvt_off_f32_i4 v82, v83
v_cvt_off_f32_i4 v84, v83, src0_sel:BYTE_2
v_cvt_pk_fp8_f32 v178, v82, v84
v_cvt_off_f32_i4 v82, v83, src0_sel:BYTE_1
v_cvt_off_f32_i4 v84, v83, src0_sel:BYTE_3
v_cvt_pk_fp8_f32 v179, v82, v84
v_lshrrev_b32 v85, 4, v83
v_cvt_off_f32_i4 v82, v85
v_cvt_off_f32_i4 v84, v85, src0_sel:BYTE_2
v_cvt_pk_fp8_f32 v178, v82, v84, op_sel:[0, 0, 1]
v_cvt_off_f32_i4 v82, v85, src0_sel:BYTE_1
v_cvt_off_f32_i4 v84, v85, src0_sel:BYTE_3
v_cvt_pk_fp8_f32 v179, v82, v84, op_sel:[0, 0, 1]

	;;#ASMEND
	ds_read_b64 v[82:83], v123 offset:16384
	s_waitcnt lgkmcnt(0)
	;;#ASMSTART
	v_cvt_off_f32_i4 v84, v82
v_cvt_off_f32_i4 v85, v82, src0_sel:BYTE_2
v_cvt_pk_fp8_f32 v180, v84, v85
v_cvt_off_f32_i4 v84, v82, src0_sel:BYTE_1
v_cvt_off_f32_i4 v85, v82, src0_sel:BYTE_3
v_cvt_pk_fp8_f32 v181, v84, v85
v_lshrrev_b32 v87, 4, v82
v_cvt_off_f32_i4 v84, v87
v_cvt_off_f32_i4 v85, v87, src0_sel:BYTE_2
v_cvt_pk_fp8_f32 v180, v84, v85, op_sel:[0, 0, 1]
v_cvt_off_f32_i4 v84, v87, src0_sel:BYTE_1
v_cvt_off_f32_i4 v85, v87, src0_sel:BYTE_3
v_cvt_pk_fp8_f32 v181, v84, v85, op_sel:[0, 0, 1]

	;;#ASMEND
	s_add_i32 s0, s3, s2
	;;#ASMSTART
	v_cvt_off_f32_i4 v82, v83
v_cvt_off_f32_i4 v84, v83, src0_sel:BYTE_2
v_cvt_pk_fp8_f32 v182, v82, v84
v_cvt_off_f32_i4 v82, v83, src0_sel:BYTE_1
v_cvt_off_f32_i4 v84, v83, src0_sel:BYTE_3
v_cvt_pk_fp8_f32 v183, v82, v84
v_lshrrev_b32 v85, 4, v83
v_cvt_off_f32_i4 v82, v85
v_cvt_off_f32_i4 v84, v85, src0_sel:BYTE_2
v_cvt_pk_fp8_f32 v182, v82, v84, op_sel:[0, 0, 1]
v_cvt_off_f32_i4 v82, v85, src0_sel:BYTE_1
v_cvt_off_f32_i4 v84, v85, src0_sel:BYTE_3
v_cvt_pk_fp8_f32 v183, v82, v84, op_sel:[0, 0, 1]

	;;#ASMEND
	ds_read_b64 v[82:83], v122 offset:16384
	s_waitcnt lgkmcnt(0)
	;;#ASMSTART
	v_cvt_off_f32_i4 v84, v82
v_cvt_off_f32_i4 v85, v82, src0_sel:BYTE_2
v_cvt_pk_fp8_f32 v184, v84, v85
v_cvt_off_f32_i4 v84, v82, src0_sel:BYTE_1
v_cvt_off_f32_i4 v85, v82, src0_sel:BYTE_3
v_cvt_pk_fp8_f32 v185, v84, v85
v_lshrrev_b32 v87, 4, v82
v_cvt_off_f32_i4 v84, v87
v_cvt_off_f32_i4 v85, v87, src0_sel:BYTE_2
v_cvt_pk_fp8_f32 v184, v84, v85, op_sel:[0, 0, 1]
v_cvt_off_f32_i4 v84, v87, src0_sel:BYTE_1
v_cvt_off_f32_i4 v85, v87, src0_sel:BYTE_3
v_cvt_pk_fp8_f32 v185, v84, v85, op_sel:[0, 0, 1]

	;;#ASMEND
	s_nop 0
	;;#ASMSTART
	v_cvt_off_f32_i4 v82, v83
v_cvt_off_f32_i4 v84, v83, src0_sel:BYTE_2
v_cvt_pk_fp8_f32 v186, v82, v84
v_cvt_off_f32_i4 v82, v83, src0_sel:BYTE_1
v_cvt_off_f32_i4 v84, v83, src0_sel:BYTE_3
v_cvt_pk_fp8_f32 v187, v82, v84
v_lshrrev_b32 v85, 4, v83
v_cvt_off_f32_i4 v82, v85
v_cvt_off_f32_i4 v84, v85, src0_sel:BYTE_2
v_cvt_pk_fp8_f32 v186, v82, v84, op_sel:[0, 0, 1]
v_cvt_off_f32_i4 v82, v85, src0_sel:BYTE_1
v_cvt_off_f32_i4 v84, v85, src0_sel:BYTE_3
v_cvt_pk_fp8_f32 v187, v82, v84, op_sel:[0, 0, 1]

	;;#ASMEND
	ds_read_b64 v[82:83], v121 offset:16384
	s_waitcnt lgkmcnt(0)
	;;#ASMSTART
	v_cvt_off_f32_i4 v84, v82
v_cvt_off_f32_i4 v85, v82, src0_sel:BYTE_2
v_cvt_pk_fp8_f32 v188, v84, v85
v_cvt_off_f32_i4 v84, v82, src0_sel:BYTE_1
v_cvt_off_f32_i4 v85, v82, src0_sel:BYTE_3
v_cvt_pk_fp8_f32 v189, v84, v85
v_lshrrev_b32 v87, 4, v82
v_cvt_off_f32_i4 v84, v87
v_cvt_off_f32_i4 v85, v87, src0_sel:BYTE_2
v_cvt_pk_fp8_f32 v188, v84, v85, op_sel:[0, 0, 1]
v_cvt_off_f32_i4 v84, v87, src0_sel:BYTE_1
v_cvt_off_f32_i4 v85, v87, src0_sel:BYTE_3
v_cvt_pk_fp8_f32 v189, v84, v85, op_sel:[0, 0, 1]

	;;#ASMEND
	s_nop 0
	;;#ASMSTART
	v_cvt_off_f32_i4 v82, v83
v_cvt_off_f32_i4 v84, v83, src0_sel:BYTE_2
v_cvt_pk_fp8_f32 v190, v82, v84
v_cvt_off_f32_i4 v82, v83, src0_sel:BYTE_1
v_cvt_off_f32_i4 v84, v83, src0_sel:BYTE_3
v_cvt_pk_fp8_f32 v191, v82, v84
v_lshrrev_b32 v85, 4, v83
v_cvt_off_f32_i4 v82, v85
v_cvt_off_f32_i4 v84, v85, src0_sel:BYTE_2
v_cvt_pk_fp8_f32 v190, v82, v84, op_sel:[0, 0, 1]
v_cvt_off_f32_i4 v82, v85, src0_sel:BYTE_1
v_cvt_off_f32_i4 v84, v85, src0_sel:BYTE_3
v_cvt_pk_fp8_f32 v191, v82, v84, op_sel:[0, 0, 1]

	;;#ASMEND
	; sched_barrier mask(0x00000000)
	s_barrier
	; sched_barrier mask(0x00000000)
	v_mfma_f32_16x16x128_f8f6f4 v[78:81], v[88:95], v[160:167], v[78:81]
	; sched_barrier mask(0x00000000)
	s_setprio 1
	; sched_barrier mask(0x00000000)
	v_mfma_f32_16x16x128_f8f6f4 v[82:85], v[88:95], v[168:175], v[74:77]
	v_mfma_f32_16x16x128_f8f6f4 v[192:195], v[88:95], v[176:183], v[70:73]
	;; [unrolled: 1-line block ×14, first 2 shown]
	; sched_barrier mask(0x00000000)
	s_waitcnt lgkmcnt(0)
	s_barrier
	; sched_barrier mask(0x00000000)
	v_mfma_f32_16x16x128_f8f6f4 v[152:155], v[152:159], v[184:191], v[2:5]
	; sched_barrier mask(0x00000000)
	s_setprio 0
	; sched_barrier mask(0x00000000)
	s_nop 5
	v_add_u32_e32 v2, v86, v135
	s_waitcnt vmcnt(7)
	ds_write_b128 v2, v[26:29] offset:128
	v_add_u32_e32 v2, v2, v118
	s_waitcnt vmcnt(6)
	ds_write_b128 v2, v[22:25] offset:256
	;; [unrolled: 3-line block ×4, first 2 shown]
	v_lshrrev_b32_e32 v2, 31, v142
	v_add_u32_e32 v2, v142, v2
	v_ashrrev_i32_e32 v2, 1, v2
	s_waitcnt vmcnt(3)
	ds_write_b64 v2, v[102:103] offset:16384
	v_add_u32_e32 v2, v142, v120
	v_lshrrev_b32_e32 v3, 31, v2
	v_add_u32_e32 v3, v2, v3
	v_ashrrev_i32_e32 v3, 1, v3
	v_add_u32_e32 v2, v2, v133
	s_waitcnt vmcnt(0)
	ds_write_b64 v3, v[104:105] offset:16384
	v_lshrrev_b32_e32 v3, 31, v2
	v_add_u32_e32 v3, v2, v3
	v_ashrrev_i32_e32 v3, 1, v3
	v_add_u32_e32 v2, v2, v132
	ds_write_b64 v3, v[100:101] offset:16384
	v_lshrrev_b32_e32 v3, 31, v2
	v_add_u32_e32 v2, v2, v3
	v_ashrrev_i32_e32 v2, 1, v2
	ds_write_b64 v2, v[98:99] offset:16384
	s_waitcnt lgkmcnt(0)
	s_barrier
	ds_read_b128 v[2:5], v117
	ds_read_b128 v[10:13], v117 offset:4096
	ds_read_b128 v[6:9], v139
	ds_read_b64 v[18:19], v130 offset:16384
	ds_read_b128 v[14:17], v139 offset:4096
	ds_read_b128 v[34:37], v139 offset:8192
	;; [unrolled: 1-line block ×5, first 2 shown]
	s_waitcnt lgkmcnt(5)
	;;#ASMSTART
	v_cvt_off_f32_i4 v20, v18
v_cvt_off_f32_i4 v21, v18, src0_sel:BYTE_2
v_cvt_pk_fp8_f32 v46, v20, v21
v_cvt_off_f32_i4 v20, v18, src0_sel:BYTE_1
v_cvt_off_f32_i4 v21, v18, src0_sel:BYTE_3
v_cvt_pk_fp8_f32 v47, v20, v21
v_lshrrev_b32 v22, 4, v18
v_cvt_off_f32_i4 v20, v22
v_cvt_off_f32_i4 v21, v22, src0_sel:BYTE_2
v_cvt_pk_fp8_f32 v46, v20, v21, op_sel:[0, 0, 1]
v_cvt_off_f32_i4 v20, v22, src0_sel:BYTE_1
v_cvt_off_f32_i4 v21, v22, src0_sel:BYTE_3
v_cvt_pk_fp8_f32 v47, v20, v21, op_sel:[0, 0, 1]

	;;#ASMEND
	s_nop 0
	;;#ASMSTART
	v_cvt_off_f32_i4 v18, v19
v_cvt_off_f32_i4 v20, v19, src0_sel:BYTE_2
v_cvt_pk_fp8_f32 v48, v18, v20
v_cvt_off_f32_i4 v18, v19, src0_sel:BYTE_1
v_cvt_off_f32_i4 v20, v19, src0_sel:BYTE_3
v_cvt_pk_fp8_f32 v49, v18, v20
v_lshrrev_b32 v21, 4, v19
v_cvt_off_f32_i4 v18, v21
v_cvt_off_f32_i4 v20, v21, src0_sel:BYTE_2
v_cvt_pk_fp8_f32 v48, v18, v20, op_sel:[0, 0, 1]
v_cvt_off_f32_i4 v18, v21, src0_sel:BYTE_1
v_cvt_off_f32_i4 v20, v21, src0_sel:BYTE_3
v_cvt_pk_fp8_f32 v49, v18, v20, op_sel:[0, 0, 1]

	;;#ASMEND
	ds_read_b64 v[18:19], v129 offset:16384
	s_waitcnt lgkmcnt(0)
	;;#ASMSTART
	v_cvt_off_f32_i4 v20, v18
v_cvt_off_f32_i4 v21, v18, src0_sel:BYTE_2
v_cvt_pk_fp8_f32 v50, v20, v21
v_cvt_off_f32_i4 v20, v18, src0_sel:BYTE_1
v_cvt_off_f32_i4 v21, v18, src0_sel:BYTE_3
v_cvt_pk_fp8_f32 v51, v20, v21
v_lshrrev_b32 v22, 4, v18
v_cvt_off_f32_i4 v20, v22
v_cvt_off_f32_i4 v21, v22, src0_sel:BYTE_2
v_cvt_pk_fp8_f32 v50, v20, v21, op_sel:[0, 0, 1]
v_cvt_off_f32_i4 v20, v22, src0_sel:BYTE_1
v_cvt_off_f32_i4 v21, v22, src0_sel:BYTE_3
v_cvt_pk_fp8_f32 v51, v20, v21, op_sel:[0, 0, 1]

	;;#ASMEND
	s_nop 0
	;;#ASMSTART
	v_cvt_off_f32_i4 v18, v19
v_cvt_off_f32_i4 v20, v19, src0_sel:BYTE_2
v_cvt_pk_fp8_f32 v52, v18, v20
v_cvt_off_f32_i4 v18, v19, src0_sel:BYTE_1
v_cvt_off_f32_i4 v20, v19, src0_sel:BYTE_3
v_cvt_pk_fp8_f32 v53, v18, v20
v_lshrrev_b32 v21, 4, v19
v_cvt_off_f32_i4 v18, v21
v_cvt_off_f32_i4 v20, v21, src0_sel:BYTE_2
v_cvt_pk_fp8_f32 v52, v18, v20, op_sel:[0, 0, 1]
v_cvt_off_f32_i4 v18, v21, src0_sel:BYTE_1
v_cvt_off_f32_i4 v20, v21, src0_sel:BYTE_3
v_cvt_pk_fp8_f32 v53, v18, v20, op_sel:[0, 0, 1]

	;;#ASMEND
	ds_read_b64 v[18:19], v128 offset:16384
	;; [unrolled: 35-line block ×7, first 2 shown]
	s_waitcnt lgkmcnt(0)
	;;#ASMSTART
	v_cvt_off_f32_i4 v20, v18
v_cvt_off_f32_i4 v21, v18, src0_sel:BYTE_2
v_cvt_pk_fp8_f32 v74, v20, v21
v_cvt_off_f32_i4 v20, v18, src0_sel:BYTE_1
v_cvt_off_f32_i4 v21, v18, src0_sel:BYTE_3
v_cvt_pk_fp8_f32 v75, v20, v21
v_lshrrev_b32 v22, 4, v18
v_cvt_off_f32_i4 v20, v22
v_cvt_off_f32_i4 v21, v22, src0_sel:BYTE_2
v_cvt_pk_fp8_f32 v74, v20, v21, op_sel:[0, 0, 1]
v_cvt_off_f32_i4 v20, v22, src0_sel:BYTE_1
v_cvt_off_f32_i4 v21, v22, src0_sel:BYTE_3
v_cvt_pk_fp8_f32 v75, v20, v21, op_sel:[0, 0, 1]

	;;#ASMEND
	s_nop 0
	;;#ASMSTART
	v_cvt_off_f32_i4 v18, v19
v_cvt_off_f32_i4 v20, v19, src0_sel:BYTE_2
v_cvt_pk_fp8_f32 v76, v18, v20
v_cvt_off_f32_i4 v18, v19, src0_sel:BYTE_1
v_cvt_off_f32_i4 v20, v19, src0_sel:BYTE_3
v_cvt_pk_fp8_f32 v77, v18, v20
v_lshrrev_b32 v21, 4, v19
v_cvt_off_f32_i4 v18, v21
v_cvt_off_f32_i4 v20, v21, src0_sel:BYTE_2
v_cvt_pk_fp8_f32 v76, v18, v20, op_sel:[0, 0, 1]
v_cvt_off_f32_i4 v18, v21, src0_sel:BYTE_1
v_cvt_off_f32_i4 v20, v21, src0_sel:BYTE_3
v_cvt_pk_fp8_f32 v77, v18, v20, op_sel:[0, 0, 1]

	;;#ASMEND
	; sched_barrier mask(0x00000000)
	s_barrier
	; sched_barrier mask(0x00000000)
	v_mfma_f32_16x16x128_f8f6f4 v[78:81], v[2:9], v[46:53], v[78:81]
	; sched_barrier mask(0x00000000)
	s_setprio 1
	; sched_barrier mask(0x00000000)
	v_mfma_f32_16x16x128_f8f6f4 v[82:85], v[2:9], v[54:61], v[82:85]
	v_mfma_f32_16x16x128_f8f6f4 v[96:99], v[2:9], v[62:69], v[192:195]
	;; [unrolled: 1-line block ×14, first 2 shown]
	; sched_barrier mask(0x00000000)
	s_waitcnt lgkmcnt(0)
	s_barrier
	; sched_barrier mask(0x00000000)
	v_mfma_f32_16x16x128_f8f6f4 v[14:17], v[38:45], v[70:77], v[152:155]
	; sched_barrier mask(0x00000000)
	s_setprio 0
	; sched_barrier mask(0x00000000)
	v_lshlrev_b32_e32 v0, 2, v0
	v_and_b32_e32 v30, 12, v115
	v_and_b32_e32 v33, 28, v0
	v_and_or_b32 v32, v1, 16, v30
	v_or_b32_e32 v0, s14, v33
	v_lshl_or_b32 v34, s19, 7, v1
	v_mad_u64_u32 v[30:31], s[2:3], v34, s17, v[0:1]
	v_lshlrev_b32_e32 v32, 6, v32
	v_cvt_f16_f32_e32 v31, v78
	v_lshl_or_b32 v32, v116, 1, v32
	v_lshl_add_u32 v35, v114, 1, v32
	v_cvt_f16_f32_e32 v32, v79
	v_cvt_f16_f32_e32 v36, v80
	;; [unrolled: 1-line block ×3, first 2 shown]
	s_waitcnt lgkmcnt(0)
	s_barrier
	ds_write_b16 v35, v31
	ds_write_b16 v35, v32 offset:64
	ds_write_b16 v35, v36 offset:128
	;; [unrolled: 1-line block ×3, first 2 shown]
	v_lshlrev_b32_e32 v31, 1, v33
	v_lshl_or_b32 v31, v1, 6, v31
	s_waitcnt lgkmcnt(0)
	s_barrier
	ds_read_b64 v[32:33], v31
	v_cmp_gt_i32_e32 vcc, s13, v0
	v_cmp_gt_i32_e64 s[6:7], s12, v34
	s_add_i32 s0, s13, s0
	s_lshl_b32 s22, s0, 1
	v_bfrev_b32_e32 v36, 1
	s_and_b64 s[0:1], s[6:7], vcc
	v_lshlrev_b32_e32 v1, 1, v30
	v_cndmask_b32_e64 v37, v36, 0, s[0:1]
	s_mov_b32 s23, 0x20000
	v_add_u32_e32 v37, v37, v1
	s_waitcnt lgkmcnt(0)
	buffer_atomic_pk_add_f16 v32, v37, s[20:23], 0 offen
	buffer_atomic_pk_add_f16 v33, v37, s[20:23], 4 offen
	v_cvt_f16_f32_e32 v32, v82
	v_cvt_f16_f32_e32 v33, v83
	;; [unrolled: 1-line block ×4, first 2 shown]
	v_or_b32_e32 v37, 32, v0
	s_waitcnt lgkmcnt(0)
	s_barrier
	ds_write_b16 v35, v32
	ds_write_b16 v35, v33 offset:64
	ds_write_b16 v35, v38 offset:128
	;; [unrolled: 1-line block ×3, first 2 shown]
	s_waitcnt lgkmcnt(0)
	s_barrier
	ds_read_b64 v[32:33], v31
	v_cmp_gt_i32_e64 s[0:1], s13, v37
	s_and_b64 s[2:3], s[6:7], s[0:1]
	v_cndmask_b32_e64 v37, v36, 0, s[2:3]
	v_add_u32_e32 v37, v1, v37
	s_waitcnt lgkmcnt(0)
	buffer_atomic_pk_add_f16 v32, v37, s[20:23], 0 offen offset:64
	buffer_atomic_pk_add_f16 v33, v37, s[20:23], 4 offen offset:64
	v_cvt_f16_f32_e32 v32, v96
	v_cvt_f16_f32_e32 v33, v97
	;; [unrolled: 1-line block ×4, first 2 shown]
	v_or_b32_e32 v37, 64, v0
	s_waitcnt lgkmcnt(0)
	s_barrier
	ds_write_b16 v35, v32
	ds_write_b16 v35, v33 offset:64
	ds_write_b16 v35, v38 offset:128
	;; [unrolled: 1-line block ×3, first 2 shown]
	s_waitcnt lgkmcnt(0)
	s_barrier
	ds_read_b64 v[32:33], v31
	v_cmp_gt_i32_e64 s[2:3], s13, v37
	s_and_b64 s[4:5], s[6:7], s[2:3]
	v_cndmask_b32_e64 v37, v36, 0, s[4:5]
	v_add_u32_e32 v1, v1, v37
	s_waitcnt lgkmcnt(0)
	buffer_atomic_pk_add_f16 v32, v1, s[20:23], 0 offen offset:128
	buffer_atomic_pk_add_f16 v33, v1, s[20:23], 4 offen offset:128
	v_or_b32_e32 v32, 0x60, v0
	v_cvt_f16_f32_e32 v0, v86
	v_cvt_f16_f32_e32 v1, v87
	;; [unrolled: 1-line block ×4, first 2 shown]
	s_waitcnt lgkmcnt(0)
	s_barrier
	ds_write_b16 v35, v0
	ds_write_b16 v35, v1 offset:64
	ds_write_b16 v35, v37 offset:128
	;; [unrolled: 1-line block ×3, first 2 shown]
	s_waitcnt lgkmcnt(0)
	s_barrier
	ds_read_b64 v[0:1], v31
	v_cmp_gt_i32_e64 s[4:5], s13, v32
	s_and_b64 s[6:7], s[6:7], s[4:5]
	v_add_u32_e32 v33, 0x60, v30
	v_cndmask_b32_e64 v32, v36, 0, s[6:7]
	v_lshl_add_u32 v32, v33, 1, v32
	s_waitcnt lgkmcnt(0)
	buffer_atomic_pk_add_f16 v0, v32, s[20:23], 0 offen
	buffer_atomic_pk_add_f16 v1, v32, s[20:23], 4 offen
	v_cvt_f16_f32_e32 v0, v104
	v_cvt_f16_f32_e32 v1, v105
	;; [unrolled: 1-line block ×4, first 2 shown]
	v_or_b32_e32 v32, 32, v34
	s_waitcnt lgkmcnt(0)
	s_barrier
	ds_write_b16 v35, v0
	ds_write_b16 v35, v1 offset:64
	ds_write_b16 v35, v37 offset:128
	;; [unrolled: 1-line block ×3, first 2 shown]
	s_waitcnt lgkmcnt(0)
	s_barrier
	ds_read_b64 v[0:1], v31
	v_cmp_gt_i32_e64 s[6:7], s12, v32
	s_lshl_b32 s10, s17, 5
	s_and_b64 s[8:9], s[6:7], s[4:5]
	v_add_lshl_u32 v32, v33, s10, 1
	v_cndmask_b32_e64 v33, v36, 0, s[8:9]
	v_add_u32_e32 v33, v32, v33
	s_waitcnt lgkmcnt(0)
	buffer_atomic_pk_add_f16 v0, v33, s[20:23], 0 offen
	buffer_atomic_pk_add_f16 v1, v33, s[20:23], 4 offen
	v_cvt_f16_f32_e32 v0, v118
	v_cvt_f16_f32_e32 v1, v119
	;; [unrolled: 1-line block ×4, first 2 shown]
	s_waitcnt lgkmcnt(0)
	s_barrier
	ds_write_b16 v35, v0
	ds_write_b16 v35, v1 offset:64
	ds_write_b16 v35, v33 offset:128
	;; [unrolled: 1-line block ×3, first 2 shown]
	s_waitcnt lgkmcnt(0)
	s_barrier
	ds_read_b64 v[0:1], v31
	v_mov_b32_e32 v33, 0x7fffffc0
	v_not_b32_e32 v37, 63
	s_and_b64 s[8:9], s[6:7], s[2:3]
	v_cndmask_b32_e64 v38, v33, v37, s[8:9]
	v_add_u32_e32 v38, v32, v38
	s_waitcnt lgkmcnt(0)
	buffer_atomic_pk_add_f16 v0, v38, s[20:23], 0 offen
	buffer_atomic_pk_add_f16 v1, v38, s[20:23], 4 offen
	v_cvt_f16_f32_e32 v0, v100
	v_cvt_f16_f32_e32 v1, v101
	v_cvt_f16_f32_e32 v38, v102
	v_cvt_f16_f32_e32 v39, v103
	s_waitcnt lgkmcnt(0)
	s_barrier
	ds_write_b16 v35, v0
	ds_write_b16 v35, v1 offset:64
	ds_write_b16 v35, v38 offset:128
	;; [unrolled: 1-line block ×3, first 2 shown]
	s_waitcnt lgkmcnt(0)
	s_barrier
	ds_read_b64 v[0:1], v31
	v_mov_b32_e32 v38, 0x7fffff80
	v_mov_b32_e32 v39, 0xffffff80
	s_and_b64 s[8:9], s[6:7], s[0:1]
	v_cndmask_b32_e64 v40, v38, v39, s[8:9]
	v_add_u32_e32 v32, v32, v40
	s_waitcnt lgkmcnt(0)
	buffer_atomic_pk_add_f16 v0, v32, s[20:23], 0 offen
	buffer_atomic_pk_add_f16 v1, v32, s[20:23], 4 offen
	v_cvt_f16_f32_e32 v0, v90
	v_cvt_f16_f32_e32 v1, v91
	;; [unrolled: 1-line block ×4, first 2 shown]
	s_waitcnt lgkmcnt(0)
	s_barrier
	ds_write_b16 v35, v0
	ds_write_b16 v35, v1 offset:64
	ds_write_b16 v35, v32 offset:128
	;; [unrolled: 1-line block ×3, first 2 shown]
	s_waitcnt lgkmcnt(0)
	s_barrier
	ds_read_b64 v[0:1], v31
	s_and_b64 s[6:7], vcc, s[6:7]
	v_add_u32_e32 v30, s10, v30
	v_cndmask_b32_e64 v32, v36, 0, s[6:7]
	v_lshl_add_u32 v32, v30, 1, v32
	s_waitcnt lgkmcnt(0)
	buffer_atomic_pk_add_f16 v0, v32, s[20:23], 0 offen
	buffer_atomic_pk_add_f16 v1, v32, s[20:23], 4 offen
	v_cvt_f16_f32_e32 v0, v108
	v_cvt_f16_f32_e32 v1, v109
	;; [unrolled: 1-line block ×4, first 2 shown]
	v_or_b32_e32 v32, 64, v34
	s_waitcnt lgkmcnt(0)
	s_barrier
	ds_write_b16 v35, v0
	ds_write_b16 v35, v1 offset:64
	ds_write_b16 v35, v40 offset:128
	;; [unrolled: 1-line block ×3, first 2 shown]
	s_waitcnt lgkmcnt(0)
	s_barrier
	ds_read_b64 v[0:1], v31
	v_cmp_gt_i32_e64 s[6:7], s12, v32
	v_add_u32_e32 v30, s10, v30
	s_and_b64 s[8:9], vcc, s[6:7]
	v_lshlrev_b32_e32 v32, 1, v30
	v_cndmask_b32_e64 v40, v36, 0, s[8:9]
	v_add_u32_e32 v40, v32, v40
	s_waitcnt lgkmcnt(0)
	buffer_atomic_pk_add_f16 v0, v40, s[20:23], 0 offen
	buffer_atomic_pk_add_f16 v1, v40, s[20:23], 4 offen
	v_cvt_f16_f32_e32 v0, v26
	v_cvt_f16_f32_e32 v1, v27
	;; [unrolled: 1-line block ×4, first 2 shown]
	s_waitcnt lgkmcnt(0)
	s_barrier
	ds_write_b16 v35, v0
	ds_write_b16 v35, v1 offset:64
	ds_write_b16 v35, v26 offset:128
	;; [unrolled: 1-line block ×3, first 2 shown]
	s_waitcnt lgkmcnt(0)
	s_barrier
	ds_read_b64 v[0:1], v31
	v_mov_b32_e32 v26, 0x80000040
	s_and_b64 s[8:9], s[6:7], s[0:1]
	v_cndmask_b32_e64 v26, v26, 64, s[8:9]
	v_add_u32_e32 v26, v32, v26
	s_waitcnt lgkmcnt(0)
	buffer_atomic_pk_add_f16 v0, v26, s[20:23], 0 offen
	buffer_atomic_pk_add_f16 v1, v26, s[20:23], 4 offen
	v_cvt_f16_f32_e32 v0, v22
	v_cvt_f16_f32_e32 v1, v23
	v_cvt_f16_f32_e32 v22, v24
	v_cvt_f16_f32_e32 v23, v25
	s_waitcnt lgkmcnt(0)
	s_barrier
	ds_write_b16 v35, v0
	ds_write_b16 v35, v1 offset:64
	ds_write_b16 v35, v22 offset:128
	;; [unrolled: 1-line block ×3, first 2 shown]
	s_waitcnt lgkmcnt(0)
	s_barrier
	ds_read_b64 v[0:1], v31
	v_mov_b32_e32 v22, 0x80000080
	v_mov_b32_e32 v23, 0x80
	s_and_b64 s[8:9], s[6:7], s[2:3]
	v_cndmask_b32_e64 v22, v22, v23, s[8:9]
	v_add_u32_e32 v22, v32, v22
	s_waitcnt lgkmcnt(0)
	buffer_atomic_pk_add_f16 v0, v22, s[20:23], 0 offen
	buffer_atomic_pk_add_f16 v1, v22, s[20:23], 4 offen
	v_cvt_f16_f32_e32 v0, v18
	v_cvt_f16_f32_e32 v1, v19
	;; [unrolled: 1-line block ×4, first 2 shown]
	s_waitcnt lgkmcnt(0)
	s_barrier
	ds_write_b16 v35, v0
	ds_write_b16 v35, v1 offset:64
	ds_write_b16 v35, v18 offset:128
	;; [unrolled: 1-line block ×3, first 2 shown]
	s_waitcnt lgkmcnt(0)
	s_barrier
	ds_read_b64 v[0:1], v31
	s_and_b64 s[6:7], s[6:7], s[4:5]
	v_add_u32_e32 v18, 0x60, v30
	v_cndmask_b32_e64 v19, v36, 0, s[6:7]
	v_lshl_add_u32 v19, v18, 1, v19
	s_waitcnt lgkmcnt(0)
	buffer_atomic_pk_add_f16 v0, v19, s[20:23], 0 offen
	buffer_atomic_pk_add_f16 v1, v19, s[20:23], 4 offen
	v_cvt_f16_f32_e32 v0, v14
	v_cvt_f16_f32_e32 v1, v15
	;; [unrolled: 1-line block ×4, first 2 shown]
	v_or_b32_e32 v19, 0x60, v34
	s_waitcnt lgkmcnt(0)
	s_barrier
	ds_write_b16 v35, v0
	ds_write_b16 v35, v1 offset:64
	ds_write_b16 v35, v14 offset:128
	;; [unrolled: 1-line block ×3, first 2 shown]
	s_waitcnt lgkmcnt(0)
	s_barrier
	ds_read_b64 v[0:1], v31
	v_cmp_gt_i32_e64 s[6:7], s12, v19
	s_and_b64 s[4:5], s[6:7], s[4:5]
	v_add_lshl_u32 v14, v18, s10, 1
	v_cndmask_b32_e64 v15, v36, 0, s[4:5]
	v_add_u32_e32 v15, v14, v15
	s_waitcnt lgkmcnt(0)
	buffer_atomic_pk_add_f16 v0, v15, s[20:23], 0 offen
	buffer_atomic_pk_add_f16 v1, v15, s[20:23], 4 offen
	v_cvt_f16_f32_e32 v0, v10
	v_cvt_f16_f32_e32 v1, v11
	;; [unrolled: 1-line block ×4, first 2 shown]
	s_waitcnt lgkmcnt(0)
	s_barrier
	ds_write_b16 v35, v0
	ds_write_b16 v35, v1 offset:64
	ds_write_b16 v35, v10 offset:128
	ds_write_b16 v35, v11 offset:192
	s_waitcnt lgkmcnt(0)
	s_barrier
	ds_read_b64 v[0:1], v31
	s_and_b64 s[2:3], s[6:7], s[2:3]
	v_cndmask_b32_e64 v10, v33, v37, s[2:3]
	v_add_u32_e32 v10, v14, v10
	s_waitcnt lgkmcnt(0)
	buffer_atomic_pk_add_f16 v0, v10, s[20:23], 0 offen
	buffer_atomic_pk_add_f16 v1, v10, s[20:23], 4 offen
	v_cvt_f16_f32_e32 v0, v6
	v_cvt_f16_f32_e32 v1, v7
	;; [unrolled: 1-line block ×4, first 2 shown]
	s_waitcnt lgkmcnt(0)
	s_barrier
	ds_write_b16 v35, v0
	ds_write_b16 v35, v1 offset:64
	ds_write_b16 v35, v6 offset:128
	;; [unrolled: 1-line block ×3, first 2 shown]
	s_waitcnt lgkmcnt(0)
	s_barrier
	ds_read_b64 v[0:1], v31
	s_and_b64 s[0:1], s[6:7], s[0:1]
	v_cndmask_b32_e64 v6, v38, v39, s[0:1]
	v_add_u32_e32 v6, v14, v6
	s_waitcnt lgkmcnt(0)
	buffer_atomic_pk_add_f16 v0, v6, s[20:23], 0 offen
	buffer_atomic_pk_add_f16 v1, v6, s[20:23], 4 offen
	v_cvt_f16_f32_e32 v0, v2
	v_cvt_f16_f32_e32 v1, v3
	;; [unrolled: 1-line block ×4, first 2 shown]
	s_waitcnt lgkmcnt(0)
	s_barrier
	ds_write_b16 v35, v0
	ds_write_b16 v35, v1 offset:64
	ds_write_b16 v35, v2 offset:128
	;; [unrolled: 1-line block ×3, first 2 shown]
	s_waitcnt lgkmcnt(0)
	s_barrier
	ds_read_b64 v[0:1], v31
	s_and_b64 s[0:1], vcc, s[6:7]
	v_add_u32_e32 v2, s10, v30
	v_cndmask_b32_e64 v3, v36, 0, s[0:1]
	v_lshl_add_u32 v2, v2, 1, v3
	s_waitcnt lgkmcnt(0)
	buffer_atomic_pk_add_f16 v0, v2, s[20:23], 0 offen
	buffer_atomic_pk_add_f16 v1, v2, s[20:23], 4 offen
	s_endpgm
	.section	.rodata,"a",@progbits
	.p2align	6, 0x0
	.amdhsa_kernel _ZN2ck27kernel_gemm_xdl_cshuffle_v3INS_28GridwiseGemm_xdl_cshuffle_v3INS_13tensor_layout4gemm8RowMajorENS3_11ColumnMajorES4_NS_9f8_fnuz_tENS_7pk_i4_tEfDF16_DF16_NS_16tensor_operation12element_wise11PassThroughESA_SA_LNS8_6device18GemmSpecializationE0ELi256ELi128ELi128ELi128ELi16ELi16ELi16ELi16ELi4ELi4ENS_8SequenceIJLi8ELi32ELi1EEEENSD_IJLi1ELi0ELi2EEEESF_Li2ELi16ELi16ELb0ELi0ENSD_IJLi4ELi64ELi1EEEESF_SF_Li2ELi16ELi16ELb0ELi0ELi1ELi1ENSD_IJLi1ELi32ELi1ELi8EEEELi4ELNS_26BlockGemmPipelineSchedulerE1ELNS_24BlockGemmPipelineVersionE1ES6_S6_Lb0ELb1ELb0ELi0ELb0EEELb1ELNS_25InMemoryDataOperationEnumE1ELi2ELNS_10TailNumberE10EEEvNT_8ArgumentE
		.amdhsa_group_segment_fixed_size 24576
		.amdhsa_private_segment_fixed_size 0
		.amdhsa_kernarg_size 112
		.amdhsa_user_sgpr_count 2
		.amdhsa_user_sgpr_dispatch_ptr 0
		.amdhsa_user_sgpr_queue_ptr 0
		.amdhsa_user_sgpr_kernarg_segment_ptr 1
		.amdhsa_user_sgpr_dispatch_id 0
		.amdhsa_user_sgpr_kernarg_preload_length 0
		.amdhsa_user_sgpr_kernarg_preload_offset 0
		.amdhsa_user_sgpr_private_segment_size 0
		.amdhsa_uses_dynamic_stack 0
		.amdhsa_enable_private_segment 0
		.amdhsa_system_sgpr_workgroup_id_x 1
		.amdhsa_system_sgpr_workgroup_id_y 0
		.amdhsa_system_sgpr_workgroup_id_z 1
		.amdhsa_system_sgpr_workgroup_info 0
		.amdhsa_system_vgpr_workitem_id 0
		.amdhsa_next_free_vgpr 212
		.amdhsa_next_free_sgpr 91
		.amdhsa_accum_offset 212
		.amdhsa_reserve_vcc 1
		.amdhsa_float_round_mode_32 0
		.amdhsa_float_round_mode_16_64 0
		.amdhsa_float_denorm_mode_32 3
		.amdhsa_float_denorm_mode_16_64 3
		.amdhsa_dx10_clamp 1
		.amdhsa_ieee_mode 1
		.amdhsa_fp16_overflow 0
		.amdhsa_tg_split 0
		.amdhsa_exception_fp_ieee_invalid_op 0
		.amdhsa_exception_fp_denorm_src 0
		.amdhsa_exception_fp_ieee_div_zero 0
		.amdhsa_exception_fp_ieee_overflow 0
		.amdhsa_exception_fp_ieee_underflow 0
		.amdhsa_exception_fp_ieee_inexact 0
		.amdhsa_exception_int_div_zero 0
	.end_amdhsa_kernel
	.section	.text._ZN2ck27kernel_gemm_xdl_cshuffle_v3INS_28GridwiseGemm_xdl_cshuffle_v3INS_13tensor_layout4gemm8RowMajorENS3_11ColumnMajorES4_NS_9f8_fnuz_tENS_7pk_i4_tEfDF16_DF16_NS_16tensor_operation12element_wise11PassThroughESA_SA_LNS8_6device18GemmSpecializationE0ELi256ELi128ELi128ELi128ELi16ELi16ELi16ELi16ELi4ELi4ENS_8SequenceIJLi8ELi32ELi1EEEENSD_IJLi1ELi0ELi2EEEESF_Li2ELi16ELi16ELb0ELi0ENSD_IJLi4ELi64ELi1EEEESF_SF_Li2ELi16ELi16ELb0ELi0ELi1ELi1ENSD_IJLi1ELi32ELi1ELi8EEEELi4ELNS_26BlockGemmPipelineSchedulerE1ELNS_24BlockGemmPipelineVersionE1ES6_S6_Lb0ELb1ELb0ELi0ELb0EEELb1ELNS_25InMemoryDataOperationEnumE1ELi2ELNS_10TailNumberE10EEEvNT_8ArgumentE,"axG",@progbits,_ZN2ck27kernel_gemm_xdl_cshuffle_v3INS_28GridwiseGemm_xdl_cshuffle_v3INS_13tensor_layout4gemm8RowMajorENS3_11ColumnMajorES4_NS_9f8_fnuz_tENS_7pk_i4_tEfDF16_DF16_NS_16tensor_operation12element_wise11PassThroughESA_SA_LNS8_6device18GemmSpecializationE0ELi256ELi128ELi128ELi128ELi16ELi16ELi16ELi16ELi4ELi4ENS_8SequenceIJLi8ELi32ELi1EEEENSD_IJLi1ELi0ELi2EEEESF_Li2ELi16ELi16ELb0ELi0ENSD_IJLi4ELi64ELi1EEEESF_SF_Li2ELi16ELi16ELb0ELi0ELi1ELi1ENSD_IJLi1ELi32ELi1ELi8EEEELi4ELNS_26BlockGemmPipelineSchedulerE1ELNS_24BlockGemmPipelineVersionE1ES6_S6_Lb0ELb1ELb0ELi0ELb0EEELb1ELNS_25InMemoryDataOperationEnumE1ELi2ELNS_10TailNumberE10EEEvNT_8ArgumentE,comdat
.Lfunc_end2:
	.size	_ZN2ck27kernel_gemm_xdl_cshuffle_v3INS_28GridwiseGemm_xdl_cshuffle_v3INS_13tensor_layout4gemm8RowMajorENS3_11ColumnMajorES4_NS_9f8_fnuz_tENS_7pk_i4_tEfDF16_DF16_NS_16tensor_operation12element_wise11PassThroughESA_SA_LNS8_6device18GemmSpecializationE0ELi256ELi128ELi128ELi128ELi16ELi16ELi16ELi16ELi4ELi4ENS_8SequenceIJLi8ELi32ELi1EEEENSD_IJLi1ELi0ELi2EEEESF_Li2ELi16ELi16ELb0ELi0ENSD_IJLi4ELi64ELi1EEEESF_SF_Li2ELi16ELi16ELb0ELi0ELi1ELi1ENSD_IJLi1ELi32ELi1ELi8EEEELi4ELNS_26BlockGemmPipelineSchedulerE1ELNS_24BlockGemmPipelineVersionE1ES6_S6_Lb0ELb1ELb0ELi0ELb0EEELb1ELNS_25InMemoryDataOperationEnumE1ELi2ELNS_10TailNumberE10EEEvNT_8ArgumentE, .Lfunc_end2-_ZN2ck27kernel_gemm_xdl_cshuffle_v3INS_28GridwiseGemm_xdl_cshuffle_v3INS_13tensor_layout4gemm8RowMajorENS3_11ColumnMajorES4_NS_9f8_fnuz_tENS_7pk_i4_tEfDF16_DF16_NS_16tensor_operation12element_wise11PassThroughESA_SA_LNS8_6device18GemmSpecializationE0ELi256ELi128ELi128ELi128ELi16ELi16ELi16ELi16ELi4ELi4ENS_8SequenceIJLi8ELi32ELi1EEEENSD_IJLi1ELi0ELi2EEEESF_Li2ELi16ELi16ELb0ELi0ENSD_IJLi4ELi64ELi1EEEESF_SF_Li2ELi16ELi16ELb0ELi0ELi1ELi1ENSD_IJLi1ELi32ELi1ELi8EEEELi4ELNS_26BlockGemmPipelineSchedulerE1ELNS_24BlockGemmPipelineVersionE1ES6_S6_Lb0ELb1ELb0ELi0ELb0EEELb1ELNS_25InMemoryDataOperationEnumE1ELi2ELNS_10TailNumberE10EEEvNT_8ArgumentE
                                        ; -- End function
	.set _ZN2ck27kernel_gemm_xdl_cshuffle_v3INS_28GridwiseGemm_xdl_cshuffle_v3INS_13tensor_layout4gemm8RowMajorENS3_11ColumnMajorES4_NS_9f8_fnuz_tENS_7pk_i4_tEfDF16_DF16_NS_16tensor_operation12element_wise11PassThroughESA_SA_LNS8_6device18GemmSpecializationE0ELi256ELi128ELi128ELi128ELi16ELi16ELi16ELi16ELi4ELi4ENS_8SequenceIJLi8ELi32ELi1EEEENSD_IJLi1ELi0ELi2EEEESF_Li2ELi16ELi16ELb0ELi0ENSD_IJLi4ELi64ELi1EEEESF_SF_Li2ELi16ELi16ELb0ELi0ELi1ELi1ENSD_IJLi1ELi32ELi1ELi8EEEELi4ELNS_26BlockGemmPipelineSchedulerE1ELNS_24BlockGemmPipelineVersionE1ES6_S6_Lb0ELb1ELb0ELi0ELb0EEELb1ELNS_25InMemoryDataOperationEnumE1ELi2ELNS_10TailNumberE10EEEvNT_8ArgumentE.num_vgpr, 212
	.set _ZN2ck27kernel_gemm_xdl_cshuffle_v3INS_28GridwiseGemm_xdl_cshuffle_v3INS_13tensor_layout4gemm8RowMajorENS3_11ColumnMajorES4_NS_9f8_fnuz_tENS_7pk_i4_tEfDF16_DF16_NS_16tensor_operation12element_wise11PassThroughESA_SA_LNS8_6device18GemmSpecializationE0ELi256ELi128ELi128ELi128ELi16ELi16ELi16ELi16ELi4ELi4ENS_8SequenceIJLi8ELi32ELi1EEEENSD_IJLi1ELi0ELi2EEEESF_Li2ELi16ELi16ELb0ELi0ENSD_IJLi4ELi64ELi1EEEESF_SF_Li2ELi16ELi16ELb0ELi0ELi1ELi1ENSD_IJLi1ELi32ELi1ELi8EEEELi4ELNS_26BlockGemmPipelineSchedulerE1ELNS_24BlockGemmPipelineVersionE1ES6_S6_Lb0ELb1ELb0ELi0ELb0EEELb1ELNS_25InMemoryDataOperationEnumE1ELi2ELNS_10TailNumberE10EEEvNT_8ArgumentE.num_agpr, 0
	.set _ZN2ck27kernel_gemm_xdl_cshuffle_v3INS_28GridwiseGemm_xdl_cshuffle_v3INS_13tensor_layout4gemm8RowMajorENS3_11ColumnMajorES4_NS_9f8_fnuz_tENS_7pk_i4_tEfDF16_DF16_NS_16tensor_operation12element_wise11PassThroughESA_SA_LNS8_6device18GemmSpecializationE0ELi256ELi128ELi128ELi128ELi16ELi16ELi16ELi16ELi4ELi4ENS_8SequenceIJLi8ELi32ELi1EEEENSD_IJLi1ELi0ELi2EEEESF_Li2ELi16ELi16ELb0ELi0ENSD_IJLi4ELi64ELi1EEEESF_SF_Li2ELi16ELi16ELb0ELi0ELi1ELi1ENSD_IJLi1ELi32ELi1ELi8EEEELi4ELNS_26BlockGemmPipelineSchedulerE1ELNS_24BlockGemmPipelineVersionE1ES6_S6_Lb0ELb1ELb0ELi0ELb0EEELb1ELNS_25InMemoryDataOperationEnumE1ELi2ELNS_10TailNumberE10EEEvNT_8ArgumentE.numbered_sgpr, 30
	.set _ZN2ck27kernel_gemm_xdl_cshuffle_v3INS_28GridwiseGemm_xdl_cshuffle_v3INS_13tensor_layout4gemm8RowMajorENS3_11ColumnMajorES4_NS_9f8_fnuz_tENS_7pk_i4_tEfDF16_DF16_NS_16tensor_operation12element_wise11PassThroughESA_SA_LNS8_6device18GemmSpecializationE0ELi256ELi128ELi128ELi128ELi16ELi16ELi16ELi16ELi4ELi4ENS_8SequenceIJLi8ELi32ELi1EEEENSD_IJLi1ELi0ELi2EEEESF_Li2ELi16ELi16ELb0ELi0ENSD_IJLi4ELi64ELi1EEEESF_SF_Li2ELi16ELi16ELb0ELi0ELi1ELi1ENSD_IJLi1ELi32ELi1ELi8EEEELi4ELNS_26BlockGemmPipelineSchedulerE1ELNS_24BlockGemmPipelineVersionE1ES6_S6_Lb0ELb1ELb0ELi0ELb0EEELb1ELNS_25InMemoryDataOperationEnumE1ELi2ELNS_10TailNumberE10EEEvNT_8ArgumentE.num_named_barrier, 0
	.set _ZN2ck27kernel_gemm_xdl_cshuffle_v3INS_28GridwiseGemm_xdl_cshuffle_v3INS_13tensor_layout4gemm8RowMajorENS3_11ColumnMajorES4_NS_9f8_fnuz_tENS_7pk_i4_tEfDF16_DF16_NS_16tensor_operation12element_wise11PassThroughESA_SA_LNS8_6device18GemmSpecializationE0ELi256ELi128ELi128ELi128ELi16ELi16ELi16ELi16ELi4ELi4ENS_8SequenceIJLi8ELi32ELi1EEEENSD_IJLi1ELi0ELi2EEEESF_Li2ELi16ELi16ELb0ELi0ENSD_IJLi4ELi64ELi1EEEESF_SF_Li2ELi16ELi16ELb0ELi0ELi1ELi1ENSD_IJLi1ELi32ELi1ELi8EEEELi4ELNS_26BlockGemmPipelineSchedulerE1ELNS_24BlockGemmPipelineVersionE1ES6_S6_Lb0ELb1ELb0ELi0ELb0EEELb1ELNS_25InMemoryDataOperationEnumE1ELi2ELNS_10TailNumberE10EEEvNT_8ArgumentE.private_seg_size, 0
	.set _ZN2ck27kernel_gemm_xdl_cshuffle_v3INS_28GridwiseGemm_xdl_cshuffle_v3INS_13tensor_layout4gemm8RowMajorENS3_11ColumnMajorES4_NS_9f8_fnuz_tENS_7pk_i4_tEfDF16_DF16_NS_16tensor_operation12element_wise11PassThroughESA_SA_LNS8_6device18GemmSpecializationE0ELi256ELi128ELi128ELi128ELi16ELi16ELi16ELi16ELi4ELi4ENS_8SequenceIJLi8ELi32ELi1EEEENSD_IJLi1ELi0ELi2EEEESF_Li2ELi16ELi16ELb0ELi0ENSD_IJLi4ELi64ELi1EEEESF_SF_Li2ELi16ELi16ELb0ELi0ELi1ELi1ENSD_IJLi1ELi32ELi1ELi8EEEELi4ELNS_26BlockGemmPipelineSchedulerE1ELNS_24BlockGemmPipelineVersionE1ES6_S6_Lb0ELb1ELb0ELi0ELb0EEELb1ELNS_25InMemoryDataOperationEnumE1ELi2ELNS_10TailNumberE10EEEvNT_8ArgumentE.uses_vcc, 1
	.set _ZN2ck27kernel_gemm_xdl_cshuffle_v3INS_28GridwiseGemm_xdl_cshuffle_v3INS_13tensor_layout4gemm8RowMajorENS3_11ColumnMajorES4_NS_9f8_fnuz_tENS_7pk_i4_tEfDF16_DF16_NS_16tensor_operation12element_wise11PassThroughESA_SA_LNS8_6device18GemmSpecializationE0ELi256ELi128ELi128ELi128ELi16ELi16ELi16ELi16ELi4ELi4ENS_8SequenceIJLi8ELi32ELi1EEEENSD_IJLi1ELi0ELi2EEEESF_Li2ELi16ELi16ELb0ELi0ENSD_IJLi4ELi64ELi1EEEESF_SF_Li2ELi16ELi16ELb0ELi0ELi1ELi1ENSD_IJLi1ELi32ELi1ELi8EEEELi4ELNS_26BlockGemmPipelineSchedulerE1ELNS_24BlockGemmPipelineVersionE1ES6_S6_Lb0ELb1ELb0ELi0ELb0EEELb1ELNS_25InMemoryDataOperationEnumE1ELi2ELNS_10TailNumberE10EEEvNT_8ArgumentE.uses_flat_scratch, 0
	.set _ZN2ck27kernel_gemm_xdl_cshuffle_v3INS_28GridwiseGemm_xdl_cshuffle_v3INS_13tensor_layout4gemm8RowMajorENS3_11ColumnMajorES4_NS_9f8_fnuz_tENS_7pk_i4_tEfDF16_DF16_NS_16tensor_operation12element_wise11PassThroughESA_SA_LNS8_6device18GemmSpecializationE0ELi256ELi128ELi128ELi128ELi16ELi16ELi16ELi16ELi4ELi4ENS_8SequenceIJLi8ELi32ELi1EEEENSD_IJLi1ELi0ELi2EEEESF_Li2ELi16ELi16ELb0ELi0ENSD_IJLi4ELi64ELi1EEEESF_SF_Li2ELi16ELi16ELb0ELi0ELi1ELi1ENSD_IJLi1ELi32ELi1ELi8EEEELi4ELNS_26BlockGemmPipelineSchedulerE1ELNS_24BlockGemmPipelineVersionE1ES6_S6_Lb0ELb1ELb0ELi0ELb0EEELb1ELNS_25InMemoryDataOperationEnumE1ELi2ELNS_10TailNumberE10EEEvNT_8ArgumentE.has_dyn_sized_stack, 0
	.set _ZN2ck27kernel_gemm_xdl_cshuffle_v3INS_28GridwiseGemm_xdl_cshuffle_v3INS_13tensor_layout4gemm8RowMajorENS3_11ColumnMajorES4_NS_9f8_fnuz_tENS_7pk_i4_tEfDF16_DF16_NS_16tensor_operation12element_wise11PassThroughESA_SA_LNS8_6device18GemmSpecializationE0ELi256ELi128ELi128ELi128ELi16ELi16ELi16ELi16ELi4ELi4ENS_8SequenceIJLi8ELi32ELi1EEEENSD_IJLi1ELi0ELi2EEEESF_Li2ELi16ELi16ELb0ELi0ENSD_IJLi4ELi64ELi1EEEESF_SF_Li2ELi16ELi16ELb0ELi0ELi1ELi1ENSD_IJLi1ELi32ELi1ELi8EEEELi4ELNS_26BlockGemmPipelineSchedulerE1ELNS_24BlockGemmPipelineVersionE1ES6_S6_Lb0ELb1ELb0ELi0ELb0EEELb1ELNS_25InMemoryDataOperationEnumE1ELi2ELNS_10TailNumberE10EEEvNT_8ArgumentE.has_recursion, 0
	.set _ZN2ck27kernel_gemm_xdl_cshuffle_v3INS_28GridwiseGemm_xdl_cshuffle_v3INS_13tensor_layout4gemm8RowMajorENS3_11ColumnMajorES4_NS_9f8_fnuz_tENS_7pk_i4_tEfDF16_DF16_NS_16tensor_operation12element_wise11PassThroughESA_SA_LNS8_6device18GemmSpecializationE0ELi256ELi128ELi128ELi128ELi16ELi16ELi16ELi16ELi4ELi4ENS_8SequenceIJLi8ELi32ELi1EEEENSD_IJLi1ELi0ELi2EEEESF_Li2ELi16ELi16ELb0ELi0ENSD_IJLi4ELi64ELi1EEEESF_SF_Li2ELi16ELi16ELb0ELi0ELi1ELi1ENSD_IJLi1ELi32ELi1ELi8EEEELi4ELNS_26BlockGemmPipelineSchedulerE1ELNS_24BlockGemmPipelineVersionE1ES6_S6_Lb0ELb1ELb0ELi0ELb0EEELb1ELNS_25InMemoryDataOperationEnumE1ELi2ELNS_10TailNumberE10EEEvNT_8ArgumentE.has_indirect_call, 0
	.section	.AMDGPU.csdata,"",@progbits
; Kernel info:
; codeLenInByte = 19896
; TotalNumSgprs: 36
; NumVgprs: 212
; NumAgprs: 0
; TotalNumVgprs: 212
; ScratchSize: 0
; MemoryBound: 0
; FloatMode: 240
; IeeeMode: 1
; LDSByteSize: 24576 bytes/workgroup (compile time only)
; SGPRBlocks: 12
; VGPRBlocks: 26
; NumSGPRsForWavesPerEU: 97
; NumVGPRsForWavesPerEU: 212
; AccumOffset: 212
; Occupancy: 2
; WaveLimiterHint : 0
; COMPUTE_PGM_RSRC2:SCRATCH_EN: 0
; COMPUTE_PGM_RSRC2:USER_SGPR: 2
; COMPUTE_PGM_RSRC2:TRAP_HANDLER: 0
; COMPUTE_PGM_RSRC2:TGID_X_EN: 1
; COMPUTE_PGM_RSRC2:TGID_Y_EN: 0
; COMPUTE_PGM_RSRC2:TGID_Z_EN: 1
; COMPUTE_PGM_RSRC2:TIDIG_COMP_CNT: 0
; COMPUTE_PGM_RSRC3_GFX90A:ACCUM_OFFSET: 52
; COMPUTE_PGM_RSRC3_GFX90A:TG_SPLIT: 0
	.section	.text._ZN2ck27kernel_gemm_xdl_cshuffle_v3INS_28GridwiseGemm_xdl_cshuffle_v3INS_13tensor_layout4gemm8RowMajorENS3_11ColumnMajorES4_NS_9f8_fnuz_tENS_7pk_i4_tEfDF16_DF16_NS_16tensor_operation12element_wise11PassThroughESA_SA_LNS8_6device18GemmSpecializationE0ELi256ELi128ELi128ELi128ELi16ELi16ELi16ELi16ELi4ELi4ENS_8SequenceIJLi8ELi32ELi1EEEENSD_IJLi1ELi0ELi2EEEESF_Li2ELi16ELi16ELb0ELi0ENSD_IJLi4ELi64ELi1EEEESF_SF_Li2ELi16ELi16ELb0ELi0ELi1ELi1ENSD_IJLi1ELi32ELi1ELi8EEEELi4ELNS_26BlockGemmPipelineSchedulerE1ELNS_24BlockGemmPipelineVersionE1ES6_S6_Lb0ELb1ELb0ELi0ELb0EEELb1ELNS_25InMemoryDataOperationEnumE0ELi2ELNS_10TailNumberE2EEEvNT_8ArgumentE,"axG",@progbits,_ZN2ck27kernel_gemm_xdl_cshuffle_v3INS_28GridwiseGemm_xdl_cshuffle_v3INS_13tensor_layout4gemm8RowMajorENS3_11ColumnMajorES4_NS_9f8_fnuz_tENS_7pk_i4_tEfDF16_DF16_NS_16tensor_operation12element_wise11PassThroughESA_SA_LNS8_6device18GemmSpecializationE0ELi256ELi128ELi128ELi128ELi16ELi16ELi16ELi16ELi4ELi4ENS_8SequenceIJLi8ELi32ELi1EEEENSD_IJLi1ELi0ELi2EEEESF_Li2ELi16ELi16ELb0ELi0ENSD_IJLi4ELi64ELi1EEEESF_SF_Li2ELi16ELi16ELb0ELi0ELi1ELi1ENSD_IJLi1ELi32ELi1ELi8EEEELi4ELNS_26BlockGemmPipelineSchedulerE1ELNS_24BlockGemmPipelineVersionE1ES6_S6_Lb0ELb1ELb0ELi0ELb0EEELb1ELNS_25InMemoryDataOperationEnumE0ELi2ELNS_10TailNumberE2EEEvNT_8ArgumentE,comdat
	.protected	_ZN2ck27kernel_gemm_xdl_cshuffle_v3INS_28GridwiseGemm_xdl_cshuffle_v3INS_13tensor_layout4gemm8RowMajorENS3_11ColumnMajorES4_NS_9f8_fnuz_tENS_7pk_i4_tEfDF16_DF16_NS_16tensor_operation12element_wise11PassThroughESA_SA_LNS8_6device18GemmSpecializationE0ELi256ELi128ELi128ELi128ELi16ELi16ELi16ELi16ELi4ELi4ENS_8SequenceIJLi8ELi32ELi1EEEENSD_IJLi1ELi0ELi2EEEESF_Li2ELi16ELi16ELb0ELi0ENSD_IJLi4ELi64ELi1EEEESF_SF_Li2ELi16ELi16ELb0ELi0ELi1ELi1ENSD_IJLi1ELi32ELi1ELi8EEEELi4ELNS_26BlockGemmPipelineSchedulerE1ELNS_24BlockGemmPipelineVersionE1ES6_S6_Lb0ELb1ELb0ELi0ELb0EEELb1ELNS_25InMemoryDataOperationEnumE0ELi2ELNS_10TailNumberE2EEEvNT_8ArgumentE ; -- Begin function _ZN2ck27kernel_gemm_xdl_cshuffle_v3INS_28GridwiseGemm_xdl_cshuffle_v3INS_13tensor_layout4gemm8RowMajorENS3_11ColumnMajorES4_NS_9f8_fnuz_tENS_7pk_i4_tEfDF16_DF16_NS_16tensor_operation12element_wise11PassThroughESA_SA_LNS8_6device18GemmSpecializationE0ELi256ELi128ELi128ELi128ELi16ELi16ELi16ELi16ELi4ELi4ENS_8SequenceIJLi8ELi32ELi1EEEENSD_IJLi1ELi0ELi2EEEESF_Li2ELi16ELi16ELb0ELi0ENSD_IJLi4ELi64ELi1EEEESF_SF_Li2ELi16ELi16ELb0ELi0ELi1ELi1ENSD_IJLi1ELi32ELi1ELi8EEEELi4ELNS_26BlockGemmPipelineSchedulerE1ELNS_24BlockGemmPipelineVersionE1ES6_S6_Lb0ELb1ELb0ELi0ELb0EEELb1ELNS_25InMemoryDataOperationEnumE0ELi2ELNS_10TailNumberE2EEEvNT_8ArgumentE
	.globl	_ZN2ck27kernel_gemm_xdl_cshuffle_v3INS_28GridwiseGemm_xdl_cshuffle_v3INS_13tensor_layout4gemm8RowMajorENS3_11ColumnMajorES4_NS_9f8_fnuz_tENS_7pk_i4_tEfDF16_DF16_NS_16tensor_operation12element_wise11PassThroughESA_SA_LNS8_6device18GemmSpecializationE0ELi256ELi128ELi128ELi128ELi16ELi16ELi16ELi16ELi4ELi4ENS_8SequenceIJLi8ELi32ELi1EEEENSD_IJLi1ELi0ELi2EEEESF_Li2ELi16ELi16ELb0ELi0ENSD_IJLi4ELi64ELi1EEEESF_SF_Li2ELi16ELi16ELb0ELi0ELi1ELi1ENSD_IJLi1ELi32ELi1ELi8EEEELi4ELNS_26BlockGemmPipelineSchedulerE1ELNS_24BlockGemmPipelineVersionE1ES6_S6_Lb0ELb1ELb0ELi0ELb0EEELb1ELNS_25InMemoryDataOperationEnumE0ELi2ELNS_10TailNumberE2EEEvNT_8ArgumentE
	.p2align	8
	.type	_ZN2ck27kernel_gemm_xdl_cshuffle_v3INS_28GridwiseGemm_xdl_cshuffle_v3INS_13tensor_layout4gemm8RowMajorENS3_11ColumnMajorES4_NS_9f8_fnuz_tENS_7pk_i4_tEfDF16_DF16_NS_16tensor_operation12element_wise11PassThroughESA_SA_LNS8_6device18GemmSpecializationE0ELi256ELi128ELi128ELi128ELi16ELi16ELi16ELi16ELi4ELi4ENS_8SequenceIJLi8ELi32ELi1EEEENSD_IJLi1ELi0ELi2EEEESF_Li2ELi16ELi16ELb0ELi0ENSD_IJLi4ELi64ELi1EEEESF_SF_Li2ELi16ELi16ELb0ELi0ELi1ELi1ENSD_IJLi1ELi32ELi1ELi8EEEELi4ELNS_26BlockGemmPipelineSchedulerE1ELNS_24BlockGemmPipelineVersionE1ES6_S6_Lb0ELb1ELb0ELi0ELb0EEELb1ELNS_25InMemoryDataOperationEnumE0ELi2ELNS_10TailNumberE2EEEvNT_8ArgumentE,@function
_ZN2ck27kernel_gemm_xdl_cshuffle_v3INS_28GridwiseGemm_xdl_cshuffle_v3INS_13tensor_layout4gemm8RowMajorENS3_11ColumnMajorES4_NS_9f8_fnuz_tENS_7pk_i4_tEfDF16_DF16_NS_16tensor_operation12element_wise11PassThroughESA_SA_LNS8_6device18GemmSpecializationE0ELi256ELi128ELi128ELi128ELi16ELi16ELi16ELi16ELi4ELi4ENS_8SequenceIJLi8ELi32ELi1EEEENSD_IJLi1ELi0ELi2EEEESF_Li2ELi16ELi16ELb0ELi0ENSD_IJLi4ELi64ELi1EEEESF_SF_Li2ELi16ELi16ELb0ELi0ELi1ELi1ENSD_IJLi1ELi32ELi1ELi8EEEELi4ELNS_26BlockGemmPipelineSchedulerE1ELNS_24BlockGemmPipelineVersionE1ES6_S6_Lb0ELb1ELb0ELi0ELb0EEELb1ELNS_25InMemoryDataOperationEnumE0ELi2ELNS_10TailNumberE2EEEvNT_8ArgumentE: ; @_ZN2ck27kernel_gemm_xdl_cshuffle_v3INS_28GridwiseGemm_xdl_cshuffle_v3INS_13tensor_layout4gemm8RowMajorENS3_11ColumnMajorES4_NS_9f8_fnuz_tENS_7pk_i4_tEfDF16_DF16_NS_16tensor_operation12element_wise11PassThroughESA_SA_LNS8_6device18GemmSpecializationE0ELi256ELi128ELi128ELi128ELi16ELi16ELi16ELi16ELi4ELi4ENS_8SequenceIJLi8ELi32ELi1EEEENSD_IJLi1ELi0ELi2EEEESF_Li2ELi16ELi16ELb0ELi0ENSD_IJLi4ELi64ELi1EEEESF_SF_Li2ELi16ELi16ELb0ELi0ELi1ELi1ENSD_IJLi1ELi32ELi1ELi8EEEELi4ELNS_26BlockGemmPipelineSchedulerE1ELNS_24BlockGemmPipelineVersionE1ES6_S6_Lb0ELb1ELb0ELi0ELb0EEELb1ELNS_25InMemoryDataOperationEnumE0ELi2ELNS_10TailNumberE2EEEvNT_8ArgumentE
; %bb.0:
	s_load_dwordx8 s[12:19], s[0:1], 0x10
	s_load_dwordx2 s[8:9], s[0:1], 0x60
	s_waitcnt lgkmcnt(0)
	s_load_dword s19, s[0:1], 0x68
	s_load_dword s22, s[0:1], 0x3c
	s_load_dwordx4 s[4:7], s[0:1], 0x50
	s_cmp_gt_i32 s18, 1
	s_cselect_b64 s[10:11], -1, 0
	s_waitcnt lgkmcnt(0)
	s_bitcmp1_b32 s19, 0
	s_cselect_b64 s[20:21], -1, 0
	s_and_b64 s[10:11], s[10:11], s[20:21]
	s_andn2_b64 vcc, exec, s[10:11]
	s_mov_b64 s[10:11], 0
	s_cbranch_vccnz .LBB3_2
; %bb.1:
	s_mul_i32 s10, s12, s3
	s_mul_i32 s10, s10, s13
	s_ashr_i32 s11, s10, 31
.LBB3_2:
	s_load_dword s23, s[0:1], 0x34
	s_add_i32 s19, s12, -1
	s_cmpk_lt_u32 s19, 0x80
	s_mov_b32 s20, 0
	s_cbranch_scc1 .LBB3_6
; %bb.3:
	s_add_i32 s0, s13, -1
	s_cmpk_lt_u32 s0, 0x80
	s_mov_b32 s0, 0
	s_cbranch_scc1 .LBB3_10
; %bb.4:
	s_add_i32 s0, s12, 0x7f
	s_ashr_i32 s1, s0, 31
	s_lshr_b32 s1, s1, 25
	s_add_i32 s0, s0, s1
	s_ashr_i32 s24, s0, 7
	s_add_i32 s0, s13, 0x7f
	s_ashr_i32 s1, s0, 31
	s_lshr_b32 s1, s1, 25
	s_add_i32 s0, s0, s1
	s_ashr_i32 s21, s0, 7
	s_mul_i32 s0, s21, s24
	s_add_i32 s1, s0, 7
	s_ashr_i32 s25, s1, 31
	s_lshr_b32 s25, s25, 29
	s_add_i32 s1, s1, s25
	s_ashr_i32 s25, s1, 3
	s_and_b32 s1, s1, -8
	s_sub_i32 s26, s0, s1
	s_ashr_i32 s0, s2, 31
	s_lshr_b32 s0, s0, 29
	s_add_i32 s28, s2, s0
	s_and_b32 s0, s28, -8
	s_add_i32 s26, s26, 8
	s_sub_i32 s27, s2, s0
	s_cmp_gt_i32 s27, s26
	s_cbranch_scc1 .LBB3_7
; %bb.5:
	s_mul_i32 s2, s25, s27
	s_ashr_i32 s0, s28, 3
	s_cbranch_execz .LBB3_8
	s_branch .LBB3_9
.LBB3_6:
	s_mov_b32 s21, 0
	s_branch .LBB3_11
.LBB3_7:
                                        ; implicit-def: $sgpr2
	s_ashr_i32 s0, s28, 3
.LBB3_8:
	s_add_i32 s1, s25, -1
	s_mul_i32 s1, s1, s27
	s_add_i32 s2, s26, s1
.LBB3_9:
	s_abs_i32 s1, s21
	v_cvt_f32_u32_e32 v1, s1
	s_sub_i32 s26, 0, s1
	s_add_i32 s0, s2, s0
	s_abs_i32 s25, s0
	v_rcp_iflag_f32_e32 v1, v1
	s_xor_b32 s2, s0, s21
	s_ashr_i32 s2, s2, 31
	v_mul_f32_e32 v1, 0x4f7ffffe, v1
	v_cvt_u32_f32_e32 v1, v1
	s_nop 0
	v_readfirstlane_b32 s27, v1
	s_mul_i32 s26, s26, s27
	s_mul_hi_u32 s26, s27, s26
	s_add_i32 s27, s27, s26
	s_mul_hi_u32 s26, s25, s27
	s_mul_i32 s27, s26, s1
	s_sub_i32 s25, s25, s27
	s_add_i32 s28, s26, 1
	s_sub_i32 s27, s25, s1
	s_cmp_ge_u32 s25, s1
	s_cselect_b32 s26, s28, s26
	s_cselect_b32 s25, s27, s25
	s_add_i32 s27, s26, 1
	s_cmp_ge_u32 s25, s1
	s_cselect_b32 s1, s27, s26
	s_xor_b32 s1, s1, s2
	s_lshr_b32 s25, s24, 30
	s_sub_i32 s1, s1, s2
	s_add_i32 s25, s24, s25
	s_mul_i32 s2, s1, s21
	s_sub_i32 s0, s0, s2
	s_and_b32 s2, s25, -4
	s_sub_i32 s24, s24, s2
	s_cmp_ge_i32 s1, s2
	s_cselect_b32 s2, s24, 4
	s_abs_i32 s25, s2
	v_cvt_f32_u32_e32 v1, s25
	s_ashr_i32 s24, s1, 31
	s_lshr_b32 s24, s24, 30
	s_add_i32 s24, s1, s24
	v_rcp_iflag_f32_e32 v1, v1
	s_and_b32 s24, s24, -4
	s_sub_i32 s24, s1, s24
	s_sub_i32 s27, 0, s25
	v_mul_f32_e32 v1, 0x4f7ffffe, v1
	v_cvt_u32_f32_e32 v1, v1
	s_mul_i32 s21, s24, s21
	s_add_i32 s21, s21, s0
	s_abs_i32 s26, s21
	v_readfirstlane_b32 s28, v1
	s_mul_i32 s27, s27, s28
	s_mul_hi_u32 s27, s28, s27
	s_add_i32 s28, s28, s27
	s_mul_hi_u32 s27, s26, s28
	s_mul_i32 s28, s27, s25
	s_xor_b32 s0, s21, s2
	s_sub_i32 s26, s26, s28
	s_ashr_i32 s0, s0, 31
	s_add_i32 s28, s27, 1
	s_sub_i32 s29, s26, s25
	s_cmp_ge_u32 s26, s25
	s_cselect_b32 s27, s28, s27
	s_cselect_b32 s26, s29, s26
	s_add_i32 s28, s27, 1
	s_cmp_ge_u32 s26, s25
	s_cselect_b32 s25, s28, s27
	s_xor_b32 s25, s25, s0
	s_sub_i32 s0, s25, s0
	s_mul_i32 s2, s0, s2
	s_sub_i32 s2, s21, s2
	s_add_i32 s2, s2, s1
	s_sub_i32 s2, s2, s24
.LBB3_10:
	s_mov_b32 s21, s2
	s_mov_b32 s2, s0
.LBB3_11:
	s_waitcnt lgkmcnt(0)
	s_mul_i32 s0, s23, s3
	s_add_i32 s18, s18, -1
	s_mul_i32 s1, s0, s13
	s_mul_i32 s24, s18, s23
	s_lshr_b32 s1, s1, 1
	s_sub_i32 s14, s14, s24
	s_cmp_lt_u32 s3, s18
	s_cselect_b32 s3, s23, s14
	s_ashr_i32 s14, s0, 31
	s_add_u32 s0, s4, s0
	s_addc_u32 s5, s5, s14
	s_add_u32 s4, s6, s1
	s_addc_u32 s7, s7, 0
	s_ashr_i32 s6, s16, 31
	s_lshl_b32 s14, s2, 7
	s_ashr_i32 s2, s22, 31
	s_lshr_b32 s6, s6, 25
	v_lshrrev_b32_e32 v27, 1, v0
	s_lshr_b32 s2, s2, 29
	s_add_i32 s6, s16, s6
	v_and_b32_e32 v1, 0x7c, v27
	s_add_i32 s22, s22, s2
	s_ashr_i32 s6, s6, 7
	s_lshl_b32 s16, s13, 7
	v_and_b32_e32 v26, 7, v0
	v_lshl_or_b32 v28, s21, 7, v1
	s_ashr_i32 s23, s22, 3
	s_mul_i32 s1, s19, s15
	v_lshlrev_b32_e32 v117, 4, v26
	v_mul_lo_u32 v118, v28, s15
	s_add_u32 s2, 0, 0
	v_add_u32_e32 v6, v118, v117
	s_addc_u32 s2, s3, s1
	s_and_b32 s1, s5, 0xffff
	s_mov_b32 s3, 0x20000
	buffer_load_dwordx4 v[2:5], v6, s[0:3], 0 offen
	v_add_u32_e32 v10, s15, v6
	buffer_load_dwordx4 v[6:9], v10, s[0:3], 0 offen
	v_lshlrev_b32_e32 v29, 1, v0
	v_and_b32_e32 v119, 6, v29
	v_and_b32_e32 v11, 0x7e, v27
	v_add_u32_e32 v16, s15, v10
	v_or_b32_e32 v14, s14, v11
	v_lshlrev_b32_e32 v15, 4, v119
	buffer_load_dwordx4 v[10:13], v16, s[0:3], 0 offen
	v_add_u32_e32 v30, s15, v16
	v_or_b32_e32 v21, 1, v119
	v_lshl_or_b32 v20, v14, 7, v15
	buffer_load_dwordx4 v[14:17], v30, s[0:3], 0 offen
	v_sub_u32_e32 v22, v21, v119
	s_mul_i32 s5, s13, s6
	v_lshlrev_b32_e32 v31, 4, v22
	v_ashrrev_i32_e32 v18, 1, v20
	s_lshl_b32 s6, s5, 6
	s_and_b32 s5, s7, 0xffff
	s_mov_b32 s7, s3
	v_add_u32_e32 v24, v20, v31
	v_sub_u32_e32 v20, v119, v21
	buffer_load_dwordx2 v[18:19], v18, s[4:7], 0 offen
	v_add_u32_e32 v22, 0x80, v24
	v_lshlrev_b32_e32 v32, 4, v20
	v_add_u32_e32 v33, v22, v32
	v_ashrrev_i32_e32 v20, 1, v33
	v_ashrrev_i32_e32 v22, 1, v22
	buffer_load_dwordx2 v[20:21], v20, s[4:7], 0 offen
	v_ashrrev_i32_e32 v24, 1, v24
	buffer_load_dwordx2 v[22:23], v22, s[4:7], 0 offen
	v_bitop3_b32 v35, v27, v26, 4 bitop3:0x6c
	buffer_load_dwordx2 v[24:25], v24, s[4:7], 0 offen
	v_lshlrev_b32_e32 v1, 7, v1
	v_and_b32_e32 v34, 4, v27
	v_lshl_or_b32 v36, v35, 4, v1
	v_lshrrev_b32_e32 v115, 2, v0
	v_lshlrev_b32_e32 v37, 1, v119
	v_bitop3_b32 v39, v37, v115, 15 bitop3:0x78
	v_lshlrev_b32_e32 v1, 8, v115
	v_bfe_u32 v38, v0, 2, 4
	v_lshl_or_b32 v148, v39, 4, v1
	s_movk_i32 s22, 0xff00
	v_or3_b32 v126, 0, 0, 0
	s_add_i32 s26, s16, 0xffffff80
	v_add_u32_e32 v33, s26, v33
	v_and_b32_e32 v114, 15, v0
	v_and_b32_e32 v29, 0x60, v29
	v_lshrrev_b32_e32 v1, 3, v0
	v_and_or_b32 v40, v1, 16, v114
	v_lshrrev_b32_e32 v41, 4, v29
	v_bitop3_b32 v42, v41, v0, 7 bitop3:0x78
	v_lshlrev_b32_e32 v40, 7, v40
	v_and_b32_e32 v116, 16, v115
	v_and_b32_e32 v43, 1, v0
	v_lshrrev_b32_e32 v29, 3, v29
	v_lshl_or_b32 v120, v42, 4, v40
	v_or_b32_e32 v40, v116, v114
	v_or_b32_e32 v44, v29, v43
	v_lshrrev_b32_e32 v40, 1, v40
	v_bitop3_b32 v29, v40, v29, v43 bitop3:0x1e
	v_lshlrev_b32_e32 v43, 8, v40
	v_lshl_or_b32 v43, v29, 4, v43
	s_mul_i32 s18, s15, -3
	s_addk_i32 s18, 0x80
	v_add_u32_e32 v30, s18, v30
	s_movk_i32 s18, 0xff80
	s_add_i32 s23, s23, -2
	v_lshrrev_b32_e32 v134, 1, v43
	v_mov_b32_e32 v113, 2
	v_mov_b32_e32 v144, 16
	v_or_b32_e32 v145, 16, v119
	v_or_b32_e32 v146, 17, v119
	v_add_u32_e32 v147, s15, v118
	s_waitcnt vmcnt(7)
	ds_write_b128 v36, v[2:5]
	v_bitop3_b32 v2, v34, v26, 1 bitop3:0x36
	v_sub_u32_e32 v3, v2, v35
	v_lshlrev_b32_e32 v121, 4, v3
	v_add_u32_e32 v122, 0x80, v121
	v_add_u32_e32 v3, v122, v36
	s_waitcnt vmcnt(6)
	ds_write_b128 v3, v[6:9]
	v_bitop3_b32 v6, v34, v26, 2 bitop3:0x36
	v_sub_u32_e32 v2, v6, v2
	v_mov_b32_e32 v7, 0x80
	v_lshl_add_u32 v123, v2, 4, v7
	v_add_u32_e32 v2, v123, v3
	v_bitop3_b32 v3, v34, v26, 3 bitop3:0x36
	v_sub_u32_e32 v4, v3, v6
	v_lshlrev_b32_e32 v4, 4, v4
	s_waitcnt vmcnt(5)
	ds_write_b128 v2, v[10:13]
	v_add_u32_e32 v2, v2, v4
	v_add_u32_e32 v8, v122, v123
	s_waitcnt vmcnt(4)
	ds_write_b128 v2, v[14:17] offset:128
	v_sub_u32_e32 v2, v35, v3
	v_add3_u32 v5, v8, v36, v4
	v_lshlrev_b32_e32 v2, 4, v2
	v_add3_u32 v124, v5, v2, s22
	v_lshrrev_b32_e32 v2, 1, v148
	v_bitop3_b32 v3, v37, v38, 1 bitop3:0x36
	s_waitcnt vmcnt(3)
	ds_write_b64 v2, v[18:19] offset:16384
	v_sub_u32_e32 v2, v3, v39
	v_lshlrev_b32_e32 v125, 4, v2
	v_add_u32_e32 v2, v125, v148
	v_ashrrev_i32_e32 v2, 1, v2
	v_bitop3_b32 v9, v37, v38, 3 bitop3:0x36
	s_waitcnt vmcnt(1)
	v_and_b32_e32 v4, 0xffff0000, v23
	v_and_b32_e32 v5, 0xff, v23
	;; [unrolled: 1-line block ×3, first 2 shown]
	ds_write_b64 v2, v[20:21] offset:16384
	v_sub_u32_e32 v2, v9, v39
	v_or3_b32 v4, v11, v4, v5
	v_and_b32_e32 v11, 0xff0000, v22
	v_and_b32_e32 v12, 0xff000000, v22
	v_lshl_add_u32 v10, v2, 4, v148
	v_and_b32_e32 v13, 0xff00, v22
	v_or3_b32 v5, v4, 0, 0
	v_or3_b32 v4, v126, v12, v11
	v_and_b32_e32 v11, 0xff, v22
	v_or3_b32 v4, v4, v13, v11
	v_ashrrev_i32_e32 v10, 1, v10
	ds_write_b64 v10, v[4:5] offset:16384
	v_add_u32_e32 v10, v33, v31
	v_lshrrev_b32_e32 v11, 31, v10
	v_bitop3_b32 v4, v37, v38, 2 bitop3:0x36
	v_add_u32_e32 v11, v10, v11
	v_add_u32_e32 v10, 0x80, v10
	v_sub_u32_e32 v5, v4, v39
	v_lshrrev_b32_e32 v12, 31, v10
	v_lshl_add_u32 v5, v5, 4, v148
	v_add_u32_e32 v12, v10, v12
	v_add_u32_e32 v10, v10, v32
	v_ashrrev_i32_e32 v5, 1, v5
	v_lshrrev_b32_e32 v13, 31, v10
	s_waitcnt vmcnt(0)
	ds_write_b64 v5, v[24:25] offset:16384
	v_ashrrev_i32_e32 v5, 1, v33
	v_add_u32_e32 v13, v10, v13
	v_ashrrev_i32_e32 v11, 1, v11
	v_ashrrev_i32_e32 v12, 1, v12
	;; [unrolled: 1-line block ×3, first 2 shown]
	buffer_load_dwordx2 v[100:101], v5, s[4:7], 0 offen
	buffer_load_dwordx2 v[98:99], v11, s[4:7], 0 offen
	;; [unrolled: 1-line block ×4, first 2 shown]
	v_or_b32_e32 v5, 1, v41
	v_sub_u32_e32 v5, v5, v41
	v_lshl_add_u32 v5, v5, 1, v44
	v_xor_b32_e32 v5, v5, v40
	v_sub_u32_e32 v5, v5, v29
	v_lshlrev_b32_e32 v5, 4, v5
	v_add_u32_e32 v11, v5, v43
	v_ashrrev_i32_e32 v133, 1, v11
	v_or_b32_e32 v11, 0x1000, v43
	v_lshrrev_b32_e32 v132, 1, v11
	v_add_u32_e32 v11, v5, v11
	v_ashrrev_i32_e32 v131, 1, v11
	v_or_b32_e32 v11, 0x2000, v43
	v_lshrrev_b32_e32 v130, 1, v11
	v_add_u32_e32 v11, v5, v11
	v_ashrrev_i32_e32 v129, 1, v11
	v_or_b32_e32 v11, 0x3000, v43
	v_add_u32_e32 v5, v5, v11
	v_ashrrev_i32_e32 v127, 1, v5
	v_or_b32_e32 v5, 3, v27
	v_bitop3_b32 v5, v5, 7, v0 bitop3:0x48
	v_sub_u32_e32 v3, v9, v3
	v_sub_u32_e32 v6, v5, v6
	v_lshlrev_b32_e32 v137, 4, v3
	v_sub_u32_e32 v3, v4, v9
	v_lshl_add_u32 v135, v6, 4, v7
	v_sub_u32_e32 v5, v35, v5
	v_mov_b32_e32 v6, 0xfffffe80
	v_lshlrev_b32_e32 v138, 4, v3
	v_add_u32_e32 v3, s15, v30
	v_lshl_add_u32 v136, v5, 4, v6
	v_add_u32_e32 v5, s15, v3
	v_add_u32_e32 v6, s15, v5
	buffer_load_dwordx4 v[66:69], v30, s[0:3], 0 offen
	buffer_load_dwordx4 v[70:73], v3, s[0:3], 0 offen
	;; [unrolled: 1-line block ×4, first 2 shown]
	v_sub_u32_e32 v3, v39, v4
	v_add_u32_e32 v108, s26, v10
	v_bitop3_b32 v10, v41, v26, 1 bitop3:0x36
	v_lshlrev_b32_e32 v140, 4, v3
	v_add3_u32 v3, v8, v135, v136
	v_sub_u32_e32 v10, v10, v42
	v_add_u32_e32 v141, v3, v3
	v_or_b32_e32 v3, 3, v28
	v_mov_b32_e32 v2, 0
	v_lshlrev_b32_e32 v10, 4, v10
	v_mul_lo_u32 v142, s15, v3
	v_or_b32_e32 v3, 2, v28
	s_mov_b32 s22, 0xff00
	v_lshrrev_b32_e32 v128, 1, v11
	v_mul_lo_u32 v143, s15, v3
	v_add_u32_e32 v139, v10, v120
	v_mov_b32_e32 v3, v2
	v_mov_b32_e32 v4, v2
	;; [unrolled: 1-line block ×63, first 2 shown]
.LBB3_12:                               ; =>This Inner Loop Header: Depth=1
	s_waitcnt lgkmcnt(0)
	s_barrier
	ds_read_b128 v[82:85], v120
	ds_read_b128 v[90:93], v120 offset:4096
	ds_read_b128 v[86:89], v139
	ds_read_b64 v[106:107], v134 offset:16384
	ds_read_b128 v[94:97], v139 offset:4096
	ds_read_b128 v[154:157], v139 offset:8192
	;; [unrolled: 1-line block ×5, first 2 shown]
	s_waitcnt lgkmcnt(5)
	;;#ASMSTART
	v_cvt_off_f32_i4 v109, v106
v_cvt_off_f32_i4 v110, v106, src0_sel:BYTE_2
v_cvt_pk_fp8_f32 v166, v109, v110
v_cvt_off_f32_i4 v109, v106, src0_sel:BYTE_1
v_cvt_off_f32_i4 v110, v106, src0_sel:BYTE_3
v_cvt_pk_fp8_f32 v167, v109, v110
v_lshrrev_b32 v111, 4, v106
v_cvt_off_f32_i4 v109, v111
v_cvt_off_f32_i4 v110, v111, src0_sel:BYTE_2
v_cvt_pk_fp8_f32 v166, v109, v110, op_sel:[0, 0, 1]
v_cvt_off_f32_i4 v109, v111, src0_sel:BYTE_1
v_cvt_off_f32_i4 v110, v111, src0_sel:BYTE_3
v_cvt_pk_fp8_f32 v167, v109, v110, op_sel:[0, 0, 1]

	;;#ASMEND
	v_add_u32_e32 v198, v117, v118
	;;#ASMSTART
	v_cvt_off_f32_i4 v106, v107
v_cvt_off_f32_i4 v109, v107, src0_sel:BYTE_2
v_cvt_pk_fp8_f32 v168, v106, v109
v_cvt_off_f32_i4 v106, v107, src0_sel:BYTE_1
v_cvt_off_f32_i4 v109, v107, src0_sel:BYTE_3
v_cvt_pk_fp8_f32 v169, v106, v109
v_lshrrev_b32 v110, 4, v107
v_cvt_off_f32_i4 v106, v110
v_cvt_off_f32_i4 v109, v110, src0_sel:BYTE_2
v_cvt_pk_fp8_f32 v168, v106, v109, op_sel:[0, 0, 1]
v_cvt_off_f32_i4 v106, v110, src0_sel:BYTE_1
v_cvt_off_f32_i4 v109, v110, src0_sel:BYTE_3
v_cvt_pk_fp8_f32 v169, v106, v109, op_sel:[0, 0, 1]

	;;#ASMEND
	ds_read_b64 v[106:107], v133 offset:16384
	s_waitcnt lgkmcnt(0)
	;;#ASMSTART
	v_cvt_off_f32_i4 v109, v106
v_cvt_off_f32_i4 v110, v106, src0_sel:BYTE_2
v_cvt_pk_fp8_f32 v170, v109, v110
v_cvt_off_f32_i4 v109, v106, src0_sel:BYTE_1
v_cvt_off_f32_i4 v110, v106, src0_sel:BYTE_3
v_cvt_pk_fp8_f32 v171, v109, v110
v_lshrrev_b32 v111, 4, v106
v_cvt_off_f32_i4 v109, v111
v_cvt_off_f32_i4 v110, v111, src0_sel:BYTE_2
v_cvt_pk_fp8_f32 v170, v109, v110, op_sel:[0, 0, 1]
v_cvt_off_f32_i4 v109, v111, src0_sel:BYTE_1
v_cvt_off_f32_i4 v110, v111, src0_sel:BYTE_3
v_cvt_pk_fp8_f32 v171, v109, v110, op_sel:[0, 0, 1]

	;;#ASMEND
	s_nop 0
	;;#ASMSTART
	v_cvt_off_f32_i4 v106, v107
v_cvt_off_f32_i4 v109, v107, src0_sel:BYTE_2
v_cvt_pk_fp8_f32 v172, v106, v109
v_cvt_off_f32_i4 v106, v107, src0_sel:BYTE_1
v_cvt_off_f32_i4 v109, v107, src0_sel:BYTE_3
v_cvt_pk_fp8_f32 v173, v106, v109
v_lshrrev_b32 v110, 4, v107
v_cvt_off_f32_i4 v106, v110
v_cvt_off_f32_i4 v109, v110, src0_sel:BYTE_2
v_cvt_pk_fp8_f32 v172, v106, v109, op_sel:[0, 0, 1]
v_cvt_off_f32_i4 v106, v110, src0_sel:BYTE_1
v_cvt_off_f32_i4 v109, v110, src0_sel:BYTE_3
v_cvt_pk_fp8_f32 v173, v106, v109, op_sel:[0, 0, 1]

	;;#ASMEND
	ds_read_b64 v[106:107], v132 offset:16384
	s_waitcnt lgkmcnt(0)
	;;#ASMSTART
	v_cvt_off_f32_i4 v109, v106
v_cvt_off_f32_i4 v110, v106, src0_sel:BYTE_2
v_cvt_pk_fp8_f32 v174, v109, v110
v_cvt_off_f32_i4 v109, v106, src0_sel:BYTE_1
v_cvt_off_f32_i4 v110, v106, src0_sel:BYTE_3
v_cvt_pk_fp8_f32 v175, v109, v110
v_lshrrev_b32 v111, 4, v106
v_cvt_off_f32_i4 v109, v111
v_cvt_off_f32_i4 v110, v111, src0_sel:BYTE_2
v_cvt_pk_fp8_f32 v174, v109, v110, op_sel:[0, 0, 1]
v_cvt_off_f32_i4 v109, v111, src0_sel:BYTE_1
v_cvt_off_f32_i4 v110, v111, src0_sel:BYTE_3
v_cvt_pk_fp8_f32 v175, v109, v110, op_sel:[0, 0, 1]

	;;#ASMEND
	s_nop 0
	;; [unrolled: 35-line block ×7, first 2 shown]
	;;#ASMSTART
	v_cvt_off_f32_i4 v106, v107
v_cvt_off_f32_i4 v109, v107, src0_sel:BYTE_2
v_cvt_pk_fp8_f32 v196, v106, v109
v_cvt_off_f32_i4 v106, v107, src0_sel:BYTE_1
v_cvt_off_f32_i4 v109, v107, src0_sel:BYTE_3
v_cvt_pk_fp8_f32 v197, v106, v109
v_lshrrev_b32 v110, 4, v107
v_cvt_off_f32_i4 v106, v110
v_cvt_off_f32_i4 v109, v110, src0_sel:BYTE_2
v_cvt_pk_fp8_f32 v196, v106, v109, op_sel:[0, 0, 1]
v_cvt_off_f32_i4 v106, v110, src0_sel:BYTE_1
v_cvt_off_f32_i4 v109, v110, src0_sel:BYTE_3
v_cvt_pk_fp8_f32 v197, v106, v109, op_sel:[0, 0, 1]

	;;#ASMEND
	; sched_barrier mask(0x00000000)
	s_barrier
	; sched_barrier mask(0x00000000)
	v_mfma_f32_16x16x128_f8f6f4 v[62:65], v[82:89], v[166:173], v[62:65]
	; sched_barrier mask(0x00000000)
	s_setprio 1
	; sched_barrier mask(0x00000000)
	v_mfma_f32_16x16x128_f8f6f4 v[58:61], v[82:89], v[174:181], v[58:61]
	v_mfma_f32_16x16x128_f8f6f4 v[54:57], v[82:89], v[182:189], v[54:57]
	;; [unrolled: 1-line block ×14, first 2 shown]
	; sched_barrier mask(0x00000000)
	s_waitcnt lgkmcnt(0)
	s_barrier
	; sched_barrier mask(0x00000000)
	v_mfma_f32_16x16x128_f8f6f4 v[2:5], v[158:165], v[190:197], v[2:5]
	; sched_barrier mask(0x00000000)
	s_setprio 0
	; sched_barrier mask(0x00000000)
	s_waitcnt vmcnt(3)
	ds_write_b128 v124, v[66:69]
	v_add_u32_e32 v66, v124, v121
	v_add_u32_e64 v186, 2, s20
	v_sub_u32_e32 v68, v146, v144
	s_waitcnt vmcnt(2)
	ds_write_b128 v66, v[70:73] offset:128
	v_sub_u32_e32 v69, v68, v119
	v_sub_u32_e32 v70, v186, v113
	v_mul_lo_u32 v70, v70, s16
	v_lshlrev_b32_e32 v69, 4, v69
	v_add3_u32 v69, v70, v108, v69
	v_lshrrev_b32_e32 v70, 31, v69
	v_add_u32_e32 v70, v69, v70
	v_add_u32_e32 v69, 0x80, v69
	v_sub_u32_e32 v68, v119, v68
	v_add_u32_e32 v66, v66, v123
	v_lshrrev_b32_e32 v67, 31, v108
	v_lshl_add_u32 v187, v68, 4, v69
	v_add_u32_e32 v191, v66, v135
	v_add_u32_e32 v67, v108, v67
	v_lshrrev_b32_e32 v71, 31, v69
	v_lshrrev_b32_e32 v68, 31, v187
	s_waitcnt vmcnt(1)
	ds_write_b128 v66, v[74:77] offset:128
	s_waitcnt vmcnt(0)
	ds_write_b128 v191, v[78:81] offset:128
	v_add_u32_e32 v193, v117, v143
	v_ashrrev_i32_e32 v67, 1, v67
	v_add_u32_e32 v71, v69, v71
	v_add_u32_e32 v68, v187, v68
	;; [unrolled: 1-line block ×3, first 2 shown]
	buffer_load_dwordx4 v[94:97], v198, s[0:3], 0 offen offset:256
	buffer_load_dwordx4 v[86:89], v192, s[0:3], 0 offen offset:256
	v_add_u32_e32 v194, v117, v142
	buffer_load_dwordx4 v[90:93], v193, s[0:3], 0 offen offset:256
	buffer_load_dwordx4 v[82:85], v194, s[0:3], 0 offen offset:256
	v_ashrrev_i32_e32 v70, 1, v70
	v_ashrrev_i32_e32 v71, 1, v71
	;; [unrolled: 1-line block ×3, first 2 shown]
	buffer_load_dwordx2 v[110:111], v67, s[4:7], 0 offen
	buffer_load_dwordx2 v[106:107], v70, s[4:7], 0 offen
	;; [unrolled: 1-line block ×4, first 2 shown]
	v_lshrrev_b32_e32 v66, 31, v148
	v_add_u32_e32 v66, v148, v66
	v_ashrrev_i32_e32 v66, 1, v66
	ds_write_b64 v66, v[100:101] offset:16384
	v_add_u32_e32 v66, v148, v125
	v_lshrrev_b32_e32 v67, 31, v66
	v_add_u32_e32 v67, v66, v67
	v_ashrrev_i32_e32 v67, 1, v67
	v_add_u32_e32 v66, v66, v137
	ds_write_b64 v67, v[104:105] offset:16384
	v_lshrrev_b32_e32 v67, 31, v66
	v_add_u32_e32 v182, v66, v138
	v_add_u32_e32 v67, v66, v67
	v_lshrrev_b32_e32 v66, 31, v182
	v_add_u32_e32 v66, v182, v66
	v_ashrrev_i32_e32 v67, 1, v67
	v_ashrrev_i32_e32 v66, 1, v66
	ds_write_b64 v67, v[102:103] offset:16384
	ds_write_b64 v66, v[98:99] offset:16384
	s_waitcnt lgkmcnt(0)
	s_barrier
	ds_read_b128 v[66:69], v120
	ds_read_b128 v[74:77], v120 offset:4096
	ds_read_b128 v[70:73], v139
	ds_read_b64 v[160:161], v134 offset:16384
	ds_read_b128 v[78:81], v139 offset:4096
	ds_read_b128 v[102:105], v139 offset:8192
	ds_read_b128 v[98:101], v120 offset:8192
	ds_read_b128 v[148:151], v120 offset:12288
	ds_read_b128 v[152:155], v139 offset:12288
	s_waitcnt lgkmcnt(5)
	;;#ASMSTART
	v_cvt_off_f32_i4 v158, v160
v_cvt_off_f32_i4 v159, v160, src0_sel:BYTE_2
v_cvt_pk_fp8_f32 v156, v158, v159
v_cvt_off_f32_i4 v158, v160, src0_sel:BYTE_1
v_cvt_off_f32_i4 v159, v160, src0_sel:BYTE_3
v_cvt_pk_fp8_f32 v157, v158, v159
v_lshrrev_b32 v162, 4, v160
v_cvt_off_f32_i4 v158, v162
v_cvt_off_f32_i4 v159, v162, src0_sel:BYTE_2
v_cvt_pk_fp8_f32 v156, v158, v159, op_sel:[0, 0, 1]
v_cvt_off_f32_i4 v158, v162, src0_sel:BYTE_1
v_cvt_off_f32_i4 v159, v162, src0_sel:BYTE_3
v_cvt_pk_fp8_f32 v157, v158, v159, op_sel:[0, 0, 1]

	;;#ASMEND
	v_add_u32_e32 v195, v182, v140
	;;#ASMSTART
	v_cvt_off_f32_i4 v160, v161
v_cvt_off_f32_i4 v162, v161, src0_sel:BYTE_2
v_cvt_pk_fp8_f32 v158, v160, v162
v_cvt_off_f32_i4 v160, v161, src0_sel:BYTE_1
v_cvt_off_f32_i4 v162, v161, src0_sel:BYTE_3
v_cvt_pk_fp8_f32 v159, v160, v162
v_lshrrev_b32 v163, 4, v161
v_cvt_off_f32_i4 v160, v163
v_cvt_off_f32_i4 v162, v163, src0_sel:BYTE_2
v_cvt_pk_fp8_f32 v158, v160, v162, op_sel:[0, 0, 1]
v_cvt_off_f32_i4 v160, v163, src0_sel:BYTE_1
v_cvt_off_f32_i4 v162, v163, src0_sel:BYTE_3
v_cvt_pk_fp8_f32 v159, v160, v162, op_sel:[0, 0, 1]

	;;#ASMEND
	ds_read_b64 v[164:165], v133 offset:16384
	s_waitcnt lgkmcnt(0)
	;;#ASMSTART
	v_cvt_off_f32_i4 v162, v164
v_cvt_off_f32_i4 v163, v164, src0_sel:BYTE_2
v_cvt_pk_fp8_f32 v160, v162, v163
v_cvt_off_f32_i4 v162, v164, src0_sel:BYTE_1
v_cvt_off_f32_i4 v163, v164, src0_sel:BYTE_3
v_cvt_pk_fp8_f32 v161, v162, v163
v_lshrrev_b32 v166, 4, v164
v_cvt_off_f32_i4 v162, v166
v_cvt_off_f32_i4 v163, v166, src0_sel:BYTE_2
v_cvt_pk_fp8_f32 v160, v162, v163, op_sel:[0, 0, 1]
v_cvt_off_f32_i4 v162, v166, src0_sel:BYTE_1
v_cvt_off_f32_i4 v163, v166, src0_sel:BYTE_3
v_cvt_pk_fp8_f32 v161, v162, v163, op_sel:[0, 0, 1]

	;;#ASMEND
	v_add_u32_e64 v196, 3, s20
	;;#ASMSTART
	v_cvt_off_f32_i4 v164, v165
v_cvt_off_f32_i4 v166, v165, src0_sel:BYTE_2
v_cvt_pk_fp8_f32 v162, v164, v166
v_cvt_off_f32_i4 v164, v165, src0_sel:BYTE_1
v_cvt_off_f32_i4 v166, v165, src0_sel:BYTE_3
v_cvt_pk_fp8_f32 v163, v164, v166
v_lshrrev_b32 v167, 4, v165
v_cvt_off_f32_i4 v164, v167
v_cvt_off_f32_i4 v166, v167, src0_sel:BYTE_2
v_cvt_pk_fp8_f32 v162, v164, v166, op_sel:[0, 0, 1]
v_cvt_off_f32_i4 v164, v167, src0_sel:BYTE_1
v_cvt_off_f32_i4 v166, v167, src0_sel:BYTE_3
v_cvt_pk_fp8_f32 v163, v164, v166, op_sel:[0, 0, 1]

	;;#ASMEND
	ds_read_b64 v[168:169], v132 offset:16384
	s_waitcnt lgkmcnt(0)
	;;#ASMSTART
	v_cvt_off_f32_i4 v166, v168
v_cvt_off_f32_i4 v167, v168, src0_sel:BYTE_2
v_cvt_pk_fp8_f32 v164, v166, v167
v_cvt_off_f32_i4 v166, v168, src0_sel:BYTE_1
v_cvt_off_f32_i4 v167, v168, src0_sel:BYTE_3
v_cvt_pk_fp8_f32 v165, v166, v167
v_lshrrev_b32 v170, 4, v168
v_cvt_off_f32_i4 v166, v170
v_cvt_off_f32_i4 v167, v170, src0_sel:BYTE_2
v_cvt_pk_fp8_f32 v164, v166, v167, op_sel:[0, 0, 1]
v_cvt_off_f32_i4 v166, v170, src0_sel:BYTE_1
v_cvt_off_f32_i4 v167, v170, src0_sel:BYTE_3
v_cvt_pk_fp8_f32 v165, v166, v167, op_sel:[0, 0, 1]

	;;#ASMEND
	s_nop 0
	;;#ASMSTART
	v_cvt_off_f32_i4 v168, v169
v_cvt_off_f32_i4 v170, v169, src0_sel:BYTE_2
v_cvt_pk_fp8_f32 v166, v168, v170
v_cvt_off_f32_i4 v168, v169, src0_sel:BYTE_1
v_cvt_off_f32_i4 v170, v169, src0_sel:BYTE_3
v_cvt_pk_fp8_f32 v167, v168, v170
v_lshrrev_b32 v171, 4, v169
v_cvt_off_f32_i4 v168, v171
v_cvt_off_f32_i4 v170, v171, src0_sel:BYTE_2
v_cvt_pk_fp8_f32 v166, v168, v170, op_sel:[0, 0, 1]
v_cvt_off_f32_i4 v168, v171, src0_sel:BYTE_1
v_cvt_off_f32_i4 v170, v171, src0_sel:BYTE_3
v_cvt_pk_fp8_f32 v167, v168, v170, op_sel:[0, 0, 1]

	;;#ASMEND
	ds_read_b64 v[172:173], v131 offset:16384
	s_waitcnt lgkmcnt(0)
	;;#ASMSTART
	v_cvt_off_f32_i4 v170, v172
v_cvt_off_f32_i4 v171, v172, src0_sel:BYTE_2
v_cvt_pk_fp8_f32 v168, v170, v171
v_cvt_off_f32_i4 v170, v172, src0_sel:BYTE_1
v_cvt_off_f32_i4 v171, v172, src0_sel:BYTE_3
v_cvt_pk_fp8_f32 v169, v170, v171
v_lshrrev_b32 v174, 4, v172
v_cvt_off_f32_i4 v170, v174
v_cvt_off_f32_i4 v171, v174, src0_sel:BYTE_2
v_cvt_pk_fp8_f32 v168, v170, v171, op_sel:[0, 0, 1]
v_cvt_off_f32_i4 v170, v174, src0_sel:BYTE_1
v_cvt_off_f32_i4 v171, v174, src0_sel:BYTE_3
v_cvt_pk_fp8_f32 v169, v170, v171, op_sel:[0, 0, 1]

	;;#ASMEND
	s_nop 0
	;; [unrolled: 35-line block ×5, first 2 shown]
	;;#ASMSTART
	v_cvt_off_f32_i4 v184, v185
v_cvt_off_f32_i4 v188, v185, src0_sel:BYTE_2
v_cvt_pk_fp8_f32 v182, v184, v188
v_cvt_off_f32_i4 v184, v185, src0_sel:BYTE_1
v_cvt_off_f32_i4 v188, v185, src0_sel:BYTE_3
v_cvt_pk_fp8_f32 v183, v184, v188
v_lshrrev_b32 v189, 4, v185
v_cvt_off_f32_i4 v184, v189
v_cvt_off_f32_i4 v188, v189, src0_sel:BYTE_2
v_cvt_pk_fp8_f32 v182, v184, v188, op_sel:[0, 0, 1]
v_cvt_off_f32_i4 v184, v189, src0_sel:BYTE_1
v_cvt_off_f32_i4 v188, v189, src0_sel:BYTE_3
v_cvt_pk_fp8_f32 v183, v184, v188, op_sel:[0, 0, 1]

	;;#ASMEND
	ds_read_b64 v[188:189], v127 offset:16384
	v_sub_u32_e32 v184, v196, v186
	v_mul_lo_u32 v184, v184, s16
	v_add3_u32 v190, v184, v187, s18
	s_waitcnt lgkmcnt(0)
	;;#ASMSTART
	v_cvt_off_f32_i4 v186, v188
v_cvt_off_f32_i4 v187, v188, src0_sel:BYTE_2
v_cvt_pk_fp8_f32 v184, v186, v187
v_cvt_off_f32_i4 v186, v188, src0_sel:BYTE_1
v_cvt_off_f32_i4 v187, v188, src0_sel:BYTE_3
v_cvt_pk_fp8_f32 v185, v186, v187
v_lshrrev_b32 v197, 4, v188
v_cvt_off_f32_i4 v186, v197
v_cvt_off_f32_i4 v187, v197, src0_sel:BYTE_2
v_cvt_pk_fp8_f32 v184, v186, v187, op_sel:[0, 0, 1]
v_cvt_off_f32_i4 v186, v197, src0_sel:BYTE_1
v_cvt_off_f32_i4 v187, v197, src0_sel:BYTE_3
v_cvt_pk_fp8_f32 v185, v186, v187, op_sel:[0, 0, 1]

	;;#ASMEND
	s_nop 0
	;;#ASMSTART
	v_cvt_off_f32_i4 v188, v189
v_cvt_off_f32_i4 v197, v189, src0_sel:BYTE_2
v_cvt_pk_fp8_f32 v186, v188, v197
v_cvt_off_f32_i4 v188, v189, src0_sel:BYTE_1
v_cvt_off_f32_i4 v197, v189, src0_sel:BYTE_3
v_cvt_pk_fp8_f32 v187, v188, v197
v_lshrrev_b32 v199, 4, v189
v_cvt_off_f32_i4 v188, v199
v_cvt_off_f32_i4 v197, v199, src0_sel:BYTE_2
v_cvt_pk_fp8_f32 v186, v188, v197, op_sel:[0, 0, 1]
v_cvt_off_f32_i4 v188, v199, src0_sel:BYTE_1
v_cvt_off_f32_i4 v197, v199, src0_sel:BYTE_3
v_cvt_pk_fp8_f32 v187, v188, v197, op_sel:[0, 0, 1]

	;;#ASMEND
	; sched_barrier mask(0x00000000)
	s_barrier
	; sched_barrier mask(0x00000000)
	v_mfma_f32_16x16x128_f8f6f4 v[62:65], v[66:73], v[156:163], v[62:65]
	; sched_barrier mask(0x00000000)
	s_setprio 1
	; sched_barrier mask(0x00000000)
	v_mfma_f32_16x16x128_f8f6f4 v[58:61], v[66:73], v[164:171], v[58:61]
	v_mfma_f32_16x16x128_f8f6f4 v[54:57], v[66:73], v[172:179], v[54:57]
	v_mfma_f32_16x16x128_f8f6f4 v[50:53], v[66:73], v[180:187], v[50:53]
	v_mfma_f32_16x16x128_f8f6f4 v[46:49], v[74:81], v[156:163], v[46:49]
	v_mfma_f32_16x16x128_f8f6f4 v[42:45], v[74:81], v[164:171], v[42:45]
	v_mfma_f32_16x16x128_f8f6f4 v[38:41], v[74:81], v[172:179], v[38:41]
	v_mfma_f32_16x16x128_f8f6f4 v[34:37], v[74:81], v[180:187], v[34:37]
	v_mfma_f32_16x16x128_f8f6f4 v[30:33], v[98:105], v[156:163], v[30:33]
	v_mfma_f32_16x16x128_f8f6f4 v[26:29], v[98:105], v[164:171], v[26:29]
	v_mfma_f32_16x16x128_f8f6f4 v[22:25], v[98:105], v[172:179], v[22:25]
	v_mfma_f32_16x16x128_f8f6f4 v[18:21], v[98:105], v[180:187], v[18:21]
	v_mfma_f32_16x16x128_f8f6f4 v[14:17], v[148:155], v[156:163], v[14:17]
	v_mfma_f32_16x16x128_f8f6f4 v[10:13], v[148:155], v[164:171], v[10:13]
	v_mfma_f32_16x16x128_f8f6f4 v[6:9], v[148:155], v[172:179], v[6:9]
	; sched_barrier mask(0x00000000)
	s_waitcnt lgkmcnt(0)
	s_barrier
	; sched_barrier mask(0x00000000)
	v_mfma_f32_16x16x128_f8f6f4 v[2:5], v[148:155], v[180:187], v[2:5]
	; sched_barrier mask(0x00000000)
	s_setprio 0
	; sched_barrier mask(0x00000000)
	v_lshrrev_b32_e32 v98, 31, v190
	v_sub_u32_e32 v100, v196, v196
	v_add_u32_e32 v101, v190, v98
	v_mad_u64_u32 v[98:99], s[24:25], v100, s16, v[190:191]
	v_mul_lo_u32 v99, v100, s16
	v_add_u32_e32 v102, 16, v98
	v_add_u32_e32 v98, 0x90, v98
	v_lshrrev_b32_e32 v103, 31, v102
	v_lshrrev_b32_e32 v104, 31, v98
	v_add3_u32 v149, v99, v98, -16
	v_add_u32_e32 v99, v102, v103
	v_add_u32_e32 v98, v98, v104
	v_lshrrev_b32_e32 v102, 31, v149
	v_ashrrev_i32_e32 v103, 1, v98
	v_add_u32_e32 v98, v149, v102
	buffer_load_dwordx4 v[66:69], v198, s[0:3], 0 offen offset:384
	buffer_load_dwordx4 v[70:73], v192, s[0:3], 0 offen offset:384
	;; [unrolled: 1-line block ×4, first 2 shown]
	v_ashrrev_i32_e32 v100, 1, v101
	v_ashrrev_i32_e32 v99, 1, v99
	;; [unrolled: 1-line block ×3, first 2 shown]
	buffer_load_dwordx2 v[100:101], v100, s[4:7], 0 offen
	s_nop 0
	buffer_load_dwordx2 v[98:99], v99, s[4:7], 0 offen
	s_nop 0
	;; [unrolled: 2-line block ×3, first 2 shown]
	buffer_load_dwordx2 v[104:105], v104, s[4:7], 0 offen
	v_add_u32_e32 v148, v191, v136
	v_add_u32_e32 v151, v195, v125
	v_lshrrev_b32_e32 v150, 31, v195
	s_waitcnt vmcnt(9)
	v_and_b32_e32 v152, 0xffff0000, v113
	v_and_b32_e32 v153, 0xff, v113
	;; [unrolled: 1-line block ×5, first 2 shown]
	ds_write_b128 v148, v[94:97] offset:128
	v_add_u32_e32 v94, v148, v121
	v_add3_u32 v95, v148, v122, v123
	v_lshrrev_b32_e32 v97, 31, v151
	v_add_u32_e32 v148, v151, v137
	v_add_u32_e64 v156, 4, s20
	v_add_u32_e32 v96, v195, v150
	v_or3_b32 v150, v113, v152, v153
	v_or3_b32 v152, v126, v155, v154
	ds_write_b128 v94, v[86:89] offset:256
	ds_write_b128 v95, v[90:93] offset:128
	v_add_u32_e32 v86, v95, v135
	v_add_u32_e32 v89, v151, v97
	v_lshrrev_b32_e32 v91, 31, v148
	v_add_u32_e32 v92, v148, v138
	v_sub_u32_e32 v153, v156, v196
	v_ashrrev_i32_e32 v88, 1, v96
	v_and_or_b32 v90, v112, s22, v152
	ds_write_b128 v86, v[82:85] offset:128
	ds_write_b64 v88, v[110:111] offset:16384
	v_ashrrev_i32_e32 v82, 1, v89
	v_add_u32_e32 v83, v148, v91
	v_lshrrev_b32_e32 v84, 31, v92
	v_add_u32_e32 v145, 16, v145
	s_add_i32 s20, s20, 2
	v_or3_b32 v87, v150, 0, 0
	v_mul_lo_u32 v93, v153, s16
	v_or_b32_sdwa v86, v90, v112 dst_sel:DWORD dst_unused:UNUSED_PAD src0_sel:DWORD src1_sel:BYTE_0
	s_waitcnt vmcnt(8)
	ds_write_b64 v82, v[108:109] offset:16384
	v_ashrrev_i32_e32 v82, 1, v83
	v_add_u32_e32 v83, v92, v84
	v_add_u32_e32 v124, v124, v141
	;; [unrolled: 1-line block ×8, first 2 shown]
	v_lshrrev_b32_e32 v113, 3, v145
	s_cmp_lt_i32 s20, s23
	v_add_u32_e32 v148, v92, v140
	v_add3_u32 v108, v93, v149, s18
	ds_write_b64 v82, v[86:87] offset:16384
	v_ashrrev_i32_e32 v82, 1, v83
	ds_write_b64 v82, v[106:107] offset:16384
	s_cbranch_scc1 .LBB3_12
; %bb.13:
	s_waitcnt lgkmcnt(0)
	s_barrier
	s_waitcnt vmcnt(7)
	ds_read_b128 v[66:69], v120
	s_waitcnt vmcnt(5)
	ds_read_b128 v[74:77], v120 offset:4096
	ds_read_b128 v[70:73], v139
	s_waitcnt vmcnt(1)
	ds_read_b64 v[102:103], v134 offset:16384
	ds_read_b128 v[78:81], v139 offset:4096
	ds_read_b128 v[86:89], v139 offset:8192
	;; [unrolled: 1-line block ×5, first 2 shown]
	s_waitcnt vmcnt(0) lgkmcnt(5)
	;;#ASMSTART
	v_cvt_off_f32_i4 v100, v102
v_cvt_off_f32_i4 v101, v102, src0_sel:BYTE_2
v_cvt_pk_fp8_f32 v98, v100, v101
v_cvt_off_f32_i4 v100, v102, src0_sel:BYTE_1
v_cvt_off_f32_i4 v101, v102, src0_sel:BYTE_3
v_cvt_pk_fp8_f32 v99, v100, v101
v_lshrrev_b32 v104, 4, v102
v_cvt_off_f32_i4 v100, v104
v_cvt_off_f32_i4 v101, v104, src0_sel:BYTE_2
v_cvt_pk_fp8_f32 v98, v100, v101, op_sel:[0, 0, 1]
v_cvt_off_f32_i4 v100, v104, src0_sel:BYTE_1
v_cvt_off_f32_i4 v101, v104, src0_sel:BYTE_3
v_cvt_pk_fp8_f32 v99, v100, v101, op_sel:[0, 0, 1]

	;;#ASMEND
	s_lshl_b64 s[0:1], s[10:11], 1
	;;#ASMSTART
	v_cvt_off_f32_i4 v102, v103
v_cvt_off_f32_i4 v104, v103, src0_sel:BYTE_2
v_cvt_pk_fp8_f32 v100, v102, v104
v_cvt_off_f32_i4 v102, v103, src0_sel:BYTE_1
v_cvt_off_f32_i4 v104, v103, src0_sel:BYTE_3
v_cvt_pk_fp8_f32 v101, v102, v104
v_lshrrev_b32 v105, 4, v103
v_cvt_off_f32_i4 v102, v105
v_cvt_off_f32_i4 v104, v105, src0_sel:BYTE_2
v_cvt_pk_fp8_f32 v100, v102, v104, op_sel:[0, 0, 1]
v_cvt_off_f32_i4 v102, v105, src0_sel:BYTE_1
v_cvt_off_f32_i4 v104, v105, src0_sel:BYTE_3
v_cvt_pk_fp8_f32 v101, v102, v104, op_sel:[0, 0, 1]

	;;#ASMEND
	ds_read_b64 v[106:107], v133 offset:16384
	s_waitcnt lgkmcnt(0)
	;;#ASMSTART
	v_cvt_off_f32_i4 v104, v106
v_cvt_off_f32_i4 v105, v106, src0_sel:BYTE_2
v_cvt_pk_fp8_f32 v102, v104, v105
v_cvt_off_f32_i4 v104, v106, src0_sel:BYTE_1
v_cvt_off_f32_i4 v105, v106, src0_sel:BYTE_3
v_cvt_pk_fp8_f32 v103, v104, v105
v_lshrrev_b32 v108, 4, v106
v_cvt_off_f32_i4 v104, v108
v_cvt_off_f32_i4 v105, v108, src0_sel:BYTE_2
v_cvt_pk_fp8_f32 v102, v104, v105, op_sel:[0, 0, 1]
v_cvt_off_f32_i4 v104, v108, src0_sel:BYTE_1
v_cvt_off_f32_i4 v105, v108, src0_sel:BYTE_3
v_cvt_pk_fp8_f32 v103, v104, v105, op_sel:[0, 0, 1]

	;;#ASMEND
	s_mul_i32 s2, s19, s17
	;;#ASMSTART
	v_cvt_off_f32_i4 v106, v107
v_cvt_off_f32_i4 v108, v107, src0_sel:BYTE_2
v_cvt_pk_fp8_f32 v104, v106, v108
v_cvt_off_f32_i4 v106, v107, src0_sel:BYTE_1
v_cvt_off_f32_i4 v108, v107, src0_sel:BYTE_3
v_cvt_pk_fp8_f32 v105, v106, v108
v_lshrrev_b32 v109, 4, v107
v_cvt_off_f32_i4 v106, v109
v_cvt_off_f32_i4 v108, v109, src0_sel:BYTE_2
v_cvt_pk_fp8_f32 v104, v106, v108, op_sel:[0, 0, 1]
v_cvt_off_f32_i4 v106, v109, src0_sel:BYTE_1
v_cvt_off_f32_i4 v108, v109, src0_sel:BYTE_3
v_cvt_pk_fp8_f32 v105, v106, v108, op_sel:[0, 0, 1]

	;;#ASMEND
	ds_read_b64 v[110:111], v132 offset:16384
	s_waitcnt lgkmcnt(0)
	;;#ASMSTART
	v_cvt_off_f32_i4 v108, v110
v_cvt_off_f32_i4 v109, v110, src0_sel:BYTE_2
v_cvt_pk_fp8_f32 v106, v108, v109
v_cvt_off_f32_i4 v108, v110, src0_sel:BYTE_1
v_cvt_off_f32_i4 v109, v110, src0_sel:BYTE_3
v_cvt_pk_fp8_f32 v107, v108, v109
v_lshrrev_b32 v112, 4, v110
v_cvt_off_f32_i4 v108, v112
v_cvt_off_f32_i4 v109, v112, src0_sel:BYTE_2
v_cvt_pk_fp8_f32 v106, v108, v109, op_sel:[0, 0, 1]
v_cvt_off_f32_i4 v108, v112, src0_sel:BYTE_1
v_cvt_off_f32_i4 v109, v112, src0_sel:BYTE_3
v_cvt_pk_fp8_f32 v107, v108, v109, op_sel:[0, 0, 1]

	;;#ASMEND
	s_mul_hi_u32 s3, 0, s17
	;;#ASMSTART
	v_cvt_off_f32_i4 v110, v111
v_cvt_off_f32_i4 v112, v111, src0_sel:BYTE_2
v_cvt_pk_fp8_f32 v108, v110, v112
v_cvt_off_f32_i4 v110, v111, src0_sel:BYTE_1
v_cvt_off_f32_i4 v112, v111, src0_sel:BYTE_3
v_cvt_pk_fp8_f32 v109, v110, v112
v_lshrrev_b32 v113, 4, v111
v_cvt_off_f32_i4 v110, v113
v_cvt_off_f32_i4 v112, v113, src0_sel:BYTE_2
v_cvt_pk_fp8_f32 v108, v110, v112, op_sel:[0, 0, 1]
v_cvt_off_f32_i4 v110, v113, src0_sel:BYTE_1
v_cvt_off_f32_i4 v112, v113, src0_sel:BYTE_3
v_cvt_pk_fp8_f32 v109, v110, v112, op_sel:[0, 0, 1]

	;;#ASMEND
	ds_read_b64 v[118:119], v131 offset:16384
	s_waitcnt lgkmcnt(0)
	;;#ASMSTART
	v_cvt_off_f32_i4 v112, v118
v_cvt_off_f32_i4 v113, v118, src0_sel:BYTE_2
v_cvt_pk_fp8_f32 v110, v112, v113
v_cvt_off_f32_i4 v112, v118, src0_sel:BYTE_1
v_cvt_off_f32_i4 v113, v118, src0_sel:BYTE_3
v_cvt_pk_fp8_f32 v111, v112, v113
v_lshrrev_b32 v117, 4, v118
v_cvt_off_f32_i4 v112, v117
v_cvt_off_f32_i4 v113, v117, src0_sel:BYTE_2
v_cvt_pk_fp8_f32 v110, v112, v113, op_sel:[0, 0, 1]
v_cvt_off_f32_i4 v112, v117, src0_sel:BYTE_1
v_cvt_off_f32_i4 v113, v117, src0_sel:BYTE_3
v_cvt_pk_fp8_f32 v111, v112, v113, op_sel:[0, 0, 1]

	;;#ASMEND
	s_add_u32 s20, s8, s0
	;;#ASMSTART
	v_cvt_off_f32_i4 v117, v119
v_cvt_off_f32_i4 v118, v119, src0_sel:BYTE_2
v_cvt_pk_fp8_f32 v112, v117, v118
v_cvt_off_f32_i4 v117, v119, src0_sel:BYTE_1
v_cvt_off_f32_i4 v118, v119, src0_sel:BYTE_3
v_cvt_pk_fp8_f32 v113, v117, v118
v_lshrrev_b32 v120, 4, v119
v_cvt_off_f32_i4 v117, v120
v_cvt_off_f32_i4 v118, v120, src0_sel:BYTE_2
v_cvt_pk_fp8_f32 v112, v117, v118, op_sel:[0, 0, 1]
v_cvt_off_f32_i4 v117, v120, src0_sel:BYTE_1
v_cvt_off_f32_i4 v118, v120, src0_sel:BYTE_3
v_cvt_pk_fp8_f32 v113, v117, v118, op_sel:[0, 0, 1]

	;;#ASMEND
	ds_read_b64 v[122:123], v130 offset:16384
	s_waitcnt lgkmcnt(0)
	;;#ASMSTART
	v_cvt_off_f32_i4 v117, v122
v_cvt_off_f32_i4 v120, v122, src0_sel:BYTE_2
v_cvt_pk_fp8_f32 v118, v117, v120
v_cvt_off_f32_i4 v117, v122, src0_sel:BYTE_1
v_cvt_off_f32_i4 v120, v122, src0_sel:BYTE_3
v_cvt_pk_fp8_f32 v119, v117, v120
v_lshrrev_b32 v121, 4, v122
v_cvt_off_f32_i4 v117, v121
v_cvt_off_f32_i4 v120, v121, src0_sel:BYTE_2
v_cvt_pk_fp8_f32 v118, v117, v120, op_sel:[0, 0, 1]
v_cvt_off_f32_i4 v117, v121, src0_sel:BYTE_1
v_cvt_off_f32_i4 v120, v121, src0_sel:BYTE_3
v_cvt_pk_fp8_f32 v119, v117, v120, op_sel:[0, 0, 1]

	;;#ASMEND
	s_addc_u32 s4, s9, s1
	;;#ASMSTART
	v_cvt_off_f32_i4 v117, v123
v_cvt_off_f32_i4 v122, v123, src0_sel:BYTE_2
v_cvt_pk_fp8_f32 v120, v117, v122
v_cvt_off_f32_i4 v117, v123, src0_sel:BYTE_1
v_cvt_off_f32_i4 v122, v123, src0_sel:BYTE_3
v_cvt_pk_fp8_f32 v121, v117, v122
v_lshrrev_b32 v124, 4, v123
v_cvt_off_f32_i4 v117, v124
v_cvt_off_f32_i4 v122, v124, src0_sel:BYTE_2
v_cvt_pk_fp8_f32 v120, v117, v122, op_sel:[0, 0, 1]
v_cvt_off_f32_i4 v117, v124, src0_sel:BYTE_1
v_cvt_off_f32_i4 v122, v124, src0_sel:BYTE_3
v_cvt_pk_fp8_f32 v121, v117, v122, op_sel:[0, 0, 1]

	;;#ASMEND
	ds_read_b64 v[130:131], v129 offset:16384
	s_waitcnt lgkmcnt(0)
	;;#ASMSTART
	v_cvt_off_f32_i4 v117, v130
v_cvt_off_f32_i4 v124, v130, src0_sel:BYTE_2
v_cvt_pk_fp8_f32 v122, v117, v124
v_cvt_off_f32_i4 v117, v130, src0_sel:BYTE_1
v_cvt_off_f32_i4 v124, v130, src0_sel:BYTE_3
v_cvt_pk_fp8_f32 v123, v117, v124
v_lshrrev_b32 v125, 4, v130
v_cvt_off_f32_i4 v117, v125
v_cvt_off_f32_i4 v124, v125, src0_sel:BYTE_2
v_cvt_pk_fp8_f32 v122, v117, v124, op_sel:[0, 0, 1]
v_cvt_off_f32_i4 v117, v125, src0_sel:BYTE_1
v_cvt_off_f32_i4 v124, v125, src0_sel:BYTE_3
v_cvt_pk_fp8_f32 v123, v117, v124, op_sel:[0, 0, 1]

	;;#ASMEND
	s_add_i32 s3, s3, s2
	;;#ASMSTART
	v_cvt_off_f32_i4 v117, v131
v_cvt_off_f32_i4 v126, v131, src0_sel:BYTE_2
v_cvt_pk_fp8_f32 v124, v117, v126
v_cvt_off_f32_i4 v117, v131, src0_sel:BYTE_1
v_cvt_off_f32_i4 v126, v131, src0_sel:BYTE_3
v_cvt_pk_fp8_f32 v125, v117, v126
v_lshrrev_b32 v129, 4, v131
v_cvt_off_f32_i4 v117, v129
v_cvt_off_f32_i4 v126, v129, src0_sel:BYTE_2
v_cvt_pk_fp8_f32 v124, v117, v126, op_sel:[0, 0, 1]
v_cvt_off_f32_i4 v117, v129, src0_sel:BYTE_1
v_cvt_off_f32_i4 v126, v129, src0_sel:BYTE_3
v_cvt_pk_fp8_f32 v125, v117, v126, op_sel:[0, 0, 1]

	;;#ASMEND
	ds_read_b64 v[132:133], v128 offset:16384
	s_waitcnt lgkmcnt(0)
	;;#ASMSTART
	v_cvt_off_f32_i4 v117, v132
v_cvt_off_f32_i4 v126, v132, src0_sel:BYTE_2
v_cvt_pk_fp8_f32 v128, v117, v126
v_cvt_off_f32_i4 v117, v132, src0_sel:BYTE_1
v_cvt_off_f32_i4 v126, v132, src0_sel:BYTE_3
v_cvt_pk_fp8_f32 v129, v117, v126
v_lshrrev_b32 v130, 4, v132
v_cvt_off_f32_i4 v117, v130
v_cvt_off_f32_i4 v126, v130, src0_sel:BYTE_2
v_cvt_pk_fp8_f32 v128, v117, v126, op_sel:[0, 0, 1]
v_cvt_off_f32_i4 v117, v130, src0_sel:BYTE_1
v_cvt_off_f32_i4 v126, v130, src0_sel:BYTE_3
v_cvt_pk_fp8_f32 v129, v117, v126, op_sel:[0, 0, 1]

	;;#ASMEND
	s_nop 0
	;;#ASMSTART
	v_cvt_off_f32_i4 v117, v133
v_cvt_off_f32_i4 v126, v133, src0_sel:BYTE_2
v_cvt_pk_fp8_f32 v130, v117, v126
v_cvt_off_f32_i4 v117, v133, src0_sel:BYTE_1
v_cvt_off_f32_i4 v126, v133, src0_sel:BYTE_3
v_cvt_pk_fp8_f32 v131, v117, v126
v_lshrrev_b32 v132, 4, v133
v_cvt_off_f32_i4 v117, v132
v_cvt_off_f32_i4 v126, v132, src0_sel:BYTE_2
v_cvt_pk_fp8_f32 v130, v117, v126, op_sel:[0, 0, 1]
v_cvt_off_f32_i4 v117, v132, src0_sel:BYTE_1
v_cvt_off_f32_i4 v126, v132, src0_sel:BYTE_3
v_cvt_pk_fp8_f32 v131, v117, v126, op_sel:[0, 0, 1]

	;;#ASMEND
	ds_read_b64 v[126:127], v127 offset:16384
	s_waitcnt lgkmcnt(0)
	;;#ASMSTART
	v_cvt_off_f32_i4 v117, v126
v_cvt_off_f32_i4 v134, v126, src0_sel:BYTE_2
v_cvt_pk_fp8_f32 v132, v117, v134
v_cvt_off_f32_i4 v117, v126, src0_sel:BYTE_1
v_cvt_off_f32_i4 v134, v126, src0_sel:BYTE_3
v_cvt_pk_fp8_f32 v133, v117, v134
v_lshrrev_b32 v135, 4, v126
v_cvt_off_f32_i4 v117, v135
v_cvt_off_f32_i4 v134, v135, src0_sel:BYTE_2
v_cvt_pk_fp8_f32 v132, v117, v134, op_sel:[0, 0, 1]
v_cvt_off_f32_i4 v117, v135, src0_sel:BYTE_1
v_cvt_off_f32_i4 v134, v135, src0_sel:BYTE_3
v_cvt_pk_fp8_f32 v133, v117, v134, op_sel:[0, 0, 1]

	;;#ASMEND
	s_nop 0
	;;#ASMSTART
	v_cvt_off_f32_i4 v117, v127
v_cvt_off_f32_i4 v126, v127, src0_sel:BYTE_2
v_cvt_pk_fp8_f32 v134, v117, v126
v_cvt_off_f32_i4 v117, v127, src0_sel:BYTE_1
v_cvt_off_f32_i4 v126, v127, src0_sel:BYTE_3
v_cvt_pk_fp8_f32 v135, v117, v126
v_lshrrev_b32 v136, 4, v127
v_cvt_off_f32_i4 v117, v136
v_cvt_off_f32_i4 v126, v136, src0_sel:BYTE_2
v_cvt_pk_fp8_f32 v134, v117, v126, op_sel:[0, 0, 1]
v_cvt_off_f32_i4 v117, v136, src0_sel:BYTE_1
v_cvt_off_f32_i4 v126, v136, src0_sel:BYTE_3
v_cvt_pk_fp8_f32 v135, v117, v126, op_sel:[0, 0, 1]

	;;#ASMEND
	; sched_barrier mask(0x00000000)
	s_barrier
	; sched_barrier mask(0x00000000)
	v_mfma_f32_16x16x128_f8f6f4 v[62:65], v[66:73], v[98:105], v[62:65]
	; sched_barrier mask(0x00000000)
	s_setprio 1
	; sched_barrier mask(0x00000000)
	v_mfma_f32_16x16x128_f8f6f4 v[58:61], v[66:73], v[106:113], v[58:61]
	v_mfma_f32_16x16x128_f8f6f4 v[54:57], v[66:73], v[118:125], v[54:57]
	;; [unrolled: 1-line block ×14, first 2 shown]
	; sched_barrier mask(0x00000000)
	s_waitcnt lgkmcnt(0)
	s_barrier
	; sched_barrier mask(0x00000000)
	v_mfma_f32_16x16x128_f8f6f4 v[2:5], v[90:97], v[128:135], v[2:5]
	; sched_barrier mask(0x00000000)
	s_setprio 0
	; sched_barrier mask(0x00000000)
	v_lshlrev_b32_e32 v0, 2, v0
	v_and_b32_e32 v69, 28, v0
	v_and_b32_e32 v66, 12, v115
	v_or_b32_e32 v0, s14, v69
	v_lshl_or_b32 v70, s21, 7, v1
	v_and_or_b32 v68, v1, 16, v66
	v_mad_u64_u32 v[66:67], s[0:1], v70, s17, v[0:1]
	v_cvt_f16_f32_e32 v62, v62
	v_lshlrev_b32_e32 v67, 6, v68
	v_cvt_f16_f32_e32 v63, v63
	v_lshl_or_b32 v67, v116, 1, v67
	v_cvt_f16_f32_e32 v64, v64
	v_lshl_add_u32 v67, v114, 1, v67
	v_cvt_f16_f32_e32 v65, v65
	s_waitcnt lgkmcnt(0)
	s_barrier
	ds_write_b16 v67, v62
	ds_write_b16 v67, v63 offset:64
	ds_write_b16 v67, v64 offset:128
	;; [unrolled: 1-line block ×3, first 2 shown]
	v_lshlrev_b32_e32 v62, 1, v69
	v_lshl_or_b32 v64, v1, 6, v62
	s_waitcnt lgkmcnt(0)
	s_barrier
	ds_read_b64 v[62:63], v64
	v_cmp_gt_i32_e32 vcc, s13, v0
	v_cmp_gt_i32_e64 s[6:7], s12, v70
	s_add_i32 s0, s13, s3
	v_cvt_f16_f32_e32 v58, v58
	s_lshl_b32 s22, s0, 1
	v_bfrev_b32_e32 v65, 1
	s_and_b64 s[0:1], s[6:7], vcc
	v_cvt_f16_f32_e32 v59, v59
	v_lshlrev_b32_e32 v1, 1, v66
	v_cndmask_b32_e64 v68, v65, 0, s[0:1]
	v_cvt_f16_f32_e32 v60, v60
	s_and_b32 s21, s4, 0xffff
	s_mov_b32 s23, 0x20000
	v_add_u32_e32 v68, v68, v1
	v_cvt_f16_f32_e32 v61, v61
	s_waitcnt lgkmcnt(0)
	buffer_store_dwordx2 v[62:63], v68, s[20:23], 0 offen
	v_or_b32_e32 v62, 32, v0
	s_waitcnt lgkmcnt(0)
	s_barrier
	ds_write_b16 v67, v58
	ds_write_b16 v67, v59 offset:64
	ds_write_b16 v67, v60 offset:128
	ds_write_b16 v67, v61 offset:192
	s_waitcnt lgkmcnt(0)
	s_barrier
	ds_read_b64 v[58:59], v64
	v_cmp_gt_i32_e64 s[0:1], s13, v62
	v_cvt_f16_f32_e32 v54, v54
	s_and_b64 s[2:3], s[6:7], s[0:1]
	v_cvt_f16_f32_e32 v55, v55
	v_cndmask_b32_e64 v60, v65, 0, s[2:3]
	v_cvt_f16_f32_e32 v56, v56
	v_add_u32_e32 v60, v1, v60
	v_cvt_f16_f32_e32 v57, v57
	s_waitcnt lgkmcnt(0)
	buffer_store_dwordx2 v[58:59], v60, s[20:23], 0 offen offset:64
	v_or_b32_e32 v58, 64, v0
	s_waitcnt lgkmcnt(0)
	s_barrier
	ds_write_b16 v67, v54
	ds_write_b16 v67, v55 offset:64
	ds_write_b16 v67, v56 offset:128
	;; [unrolled: 1-line block ×3, first 2 shown]
	s_waitcnt lgkmcnt(0)
	s_barrier
	ds_read_b64 v[54:55], v64
	v_cmp_gt_i32_e64 s[2:3], s13, v58
	s_and_b64 s[4:5], s[6:7], s[2:3]
	v_cndmask_b32_e64 v56, v65, 0, s[4:5]
	v_add_u32_e32 v1, v1, v56
	s_waitcnt lgkmcnt(0)
	buffer_store_dwordx2 v[54:55], v1, s[20:23], 0 offen offset:128
	v_or_b32_e32 v54, 0x60, v0
	v_cvt_f16_f32_e32 v0, v50
	v_cvt_f16_f32_e32 v1, v51
	;; [unrolled: 1-line block ×4, first 2 shown]
	s_waitcnt lgkmcnt(0)
	s_barrier
	ds_write_b16 v67, v0
	ds_write_b16 v67, v1 offset:64
	ds_write_b16 v67, v50 offset:128
	;; [unrolled: 1-line block ×3, first 2 shown]
	s_waitcnt lgkmcnt(0)
	s_barrier
	ds_read_b64 v[0:1], v64
	v_cmp_gt_i32_e64 s[4:5], s13, v54
	s_and_b64 s[6:7], s[6:7], s[4:5]
	v_add_u32_e32 v55, 0x60, v66
	v_cndmask_b32_e64 v50, v65, 0, s[6:7]
	v_lshl_add_u32 v50, v55, 1, v50
	s_waitcnt lgkmcnt(0)
	buffer_store_dwordx2 v[0:1], v50, s[20:23], 0 offen
	v_cvt_f16_f32_e32 v0, v34
	v_cvt_f16_f32_e32 v1, v35
	;; [unrolled: 1-line block ×4, first 2 shown]
	v_or_b32_e32 v50, 32, v70
	s_waitcnt lgkmcnt(0)
	s_barrier
	ds_write_b16 v67, v0
	ds_write_b16 v67, v1 offset:64
	ds_write_b16 v67, v34 offset:128
	;; [unrolled: 1-line block ×3, first 2 shown]
	s_waitcnt lgkmcnt(0)
	s_barrier
	ds_read_b64 v[0:1], v64
	v_cmp_gt_i32_e64 s[6:7], s12, v50
	s_lshl_b32 s10, s17, 5
	s_and_b64 s[8:9], s[6:7], s[4:5]
	v_add_lshl_u32 v34, v55, s10, 1
	v_cndmask_b32_e64 v35, v65, 0, s[8:9]
	v_add_u32_e32 v35, v34, v35
	s_waitcnt lgkmcnt(0)
	buffer_store_dwordx2 v[0:1], v35, s[20:23], 0 offen
	v_cvt_f16_f32_e32 v0, v38
	v_cvt_f16_f32_e32 v1, v39
	;; [unrolled: 1-line block ×4, first 2 shown]
	s_waitcnt lgkmcnt(0)
	s_barrier
	ds_write_b16 v67, v0
	ds_write_b16 v67, v1 offset:64
	ds_write_b16 v67, v35 offset:128
	;; [unrolled: 1-line block ×3, first 2 shown]
	s_waitcnt lgkmcnt(0)
	s_barrier
	ds_read_b64 v[0:1], v64
	v_mov_b32_e32 v35, 0x7fffffc0
	v_not_b32_e32 v36, 63
	s_and_b64 s[8:9], s[6:7], s[2:3]
	v_cndmask_b32_e64 v37, v35, v36, s[8:9]
	v_add_u32_e32 v37, v34, v37
	s_waitcnt lgkmcnt(0)
	buffer_store_dwordx2 v[0:1], v37, s[20:23], 0 offen
	v_cvt_f16_f32_e32 v0, v42
	v_cvt_f16_f32_e32 v1, v43
	;; [unrolled: 1-line block ×4, first 2 shown]
	s_waitcnt lgkmcnt(0)
	s_barrier
	ds_write_b16 v67, v0
	ds_write_b16 v67, v1 offset:64
	ds_write_b16 v67, v37 offset:128
	;; [unrolled: 1-line block ×3, first 2 shown]
	s_waitcnt lgkmcnt(0)
	s_barrier
	ds_read_b64 v[0:1], v64
	v_mov_b32_e32 v37, 0x7fffff80
	v_mov_b32_e32 v38, 0xffffff80
	s_and_b64 s[8:9], s[6:7], s[0:1]
	v_cndmask_b32_e64 v39, v37, v38, s[8:9]
	v_add_u32_e32 v34, v34, v39
	s_waitcnt lgkmcnt(0)
	buffer_store_dwordx2 v[0:1], v34, s[20:23], 0 offen
	v_cvt_f16_f32_e32 v0, v46
	v_cvt_f16_f32_e32 v1, v47
	;; [unrolled: 1-line block ×4, first 2 shown]
	s_waitcnt lgkmcnt(0)
	s_barrier
	ds_write_b16 v67, v0
	ds_write_b16 v67, v1 offset:64
	ds_write_b16 v67, v34 offset:128
	;; [unrolled: 1-line block ×3, first 2 shown]
	s_waitcnt lgkmcnt(0)
	s_barrier
	ds_read_b64 v[0:1], v64
	s_and_b64 s[6:7], vcc, s[6:7]
	v_add_u32_e32 v34, s10, v66
	v_cndmask_b32_e64 v39, v65, 0, s[6:7]
	v_lshl_add_u32 v39, v34, 1, v39
	s_waitcnt lgkmcnt(0)
	buffer_store_dwordx2 v[0:1], v39, s[20:23], 0 offen
	v_cvt_f16_f32_e32 v0, v30
	v_cvt_f16_f32_e32 v1, v31
	;; [unrolled: 1-line block ×4, first 2 shown]
	v_or_b32_e32 v39, 64, v70
	s_waitcnt lgkmcnt(0)
	s_barrier
	ds_write_b16 v67, v0
	ds_write_b16 v67, v1 offset:64
	ds_write_b16 v67, v30 offset:128
	;; [unrolled: 1-line block ×3, first 2 shown]
	s_waitcnt lgkmcnt(0)
	s_barrier
	ds_read_b64 v[0:1], v64
	v_cmp_gt_i32_e64 s[6:7], s12, v39
	v_add_u32_e32 v34, s10, v34
	s_and_b64 s[8:9], vcc, s[6:7]
	v_lshlrev_b32_e32 v30, 1, v34
	v_cndmask_b32_e64 v31, v65, 0, s[8:9]
	v_add_u32_e32 v31, v30, v31
	s_waitcnt lgkmcnt(0)
	buffer_store_dwordx2 v[0:1], v31, s[20:23], 0 offen
	v_cvt_f16_f32_e32 v0, v26
	v_cvt_f16_f32_e32 v1, v27
	v_cvt_f16_f32_e32 v26, v28
	v_cvt_f16_f32_e32 v27, v29
	s_waitcnt lgkmcnt(0)
	s_barrier
	ds_write_b16 v67, v0
	ds_write_b16 v67, v1 offset:64
	ds_write_b16 v67, v26 offset:128
	;; [unrolled: 1-line block ×3, first 2 shown]
	s_waitcnt lgkmcnt(0)
	s_barrier
	ds_read_b64 v[0:1], v64
	v_mov_b32_e32 v26, 0x80000040
	s_and_b64 s[8:9], s[6:7], s[0:1]
	v_cndmask_b32_e64 v26, v26, 64, s[8:9]
	v_add_u32_e32 v26, v30, v26
	s_waitcnt lgkmcnt(0)
	buffer_store_dwordx2 v[0:1], v26, s[20:23], 0 offen
	v_cvt_f16_f32_e32 v0, v22
	v_cvt_f16_f32_e32 v1, v23
	;; [unrolled: 1-line block ×4, first 2 shown]
	s_waitcnt lgkmcnt(0)
	s_barrier
	ds_write_b16 v67, v0
	ds_write_b16 v67, v1 offset:64
	ds_write_b16 v67, v22 offset:128
	;; [unrolled: 1-line block ×3, first 2 shown]
	s_waitcnt lgkmcnt(0)
	s_barrier
	ds_read_b64 v[0:1], v64
	v_mov_b32_e32 v22, 0x80000080
	v_mov_b32_e32 v23, 0x80
	s_and_b64 s[8:9], s[6:7], s[2:3]
	v_cndmask_b32_e64 v22, v22, v23, s[8:9]
	v_add_u32_e32 v22, v30, v22
	s_waitcnt lgkmcnt(0)
	buffer_store_dwordx2 v[0:1], v22, s[20:23], 0 offen
	v_cvt_f16_f32_e32 v0, v18
	v_cvt_f16_f32_e32 v1, v19
	;; [unrolled: 1-line block ×4, first 2 shown]
	s_waitcnt lgkmcnt(0)
	s_barrier
	ds_write_b16 v67, v0
	ds_write_b16 v67, v1 offset:64
	ds_write_b16 v67, v18 offset:128
	;; [unrolled: 1-line block ×3, first 2 shown]
	s_waitcnt lgkmcnt(0)
	s_barrier
	ds_read_b64 v[0:1], v64
	s_and_b64 s[6:7], s[6:7], s[4:5]
	v_add_u32_e32 v18, 0x60, v34
	v_cndmask_b32_e64 v19, v65, 0, s[6:7]
	v_lshl_add_u32 v19, v18, 1, v19
	s_waitcnt lgkmcnt(0)
	buffer_store_dwordx2 v[0:1], v19, s[20:23], 0 offen
	v_cvt_f16_f32_e32 v0, v2
	v_cvt_f16_f32_e32 v1, v3
	;; [unrolled: 1-line block ×4, first 2 shown]
	v_or_b32_e32 v19, 0x60, v70
	s_waitcnt lgkmcnt(0)
	s_barrier
	ds_write_b16 v67, v0
	ds_write_b16 v67, v1 offset:64
	ds_write_b16 v67, v2 offset:128
	;; [unrolled: 1-line block ×3, first 2 shown]
	s_waitcnt lgkmcnt(0)
	s_barrier
	ds_read_b64 v[0:1], v64
	v_cmp_gt_i32_e64 s[6:7], s12, v19
	s_and_b64 s[4:5], s[6:7], s[4:5]
	v_add_lshl_u32 v2, v18, s10, 1
	v_cndmask_b32_e64 v3, v65, 0, s[4:5]
	v_add_u32_e32 v3, v2, v3
	s_waitcnt lgkmcnt(0)
	buffer_store_dwordx2 v[0:1], v3, s[20:23], 0 offen
	v_cvt_f16_f32_e32 v0, v6
	v_cvt_f16_f32_e32 v1, v7
	;; [unrolled: 1-line block ×4, first 2 shown]
	s_waitcnt lgkmcnt(0)
	s_barrier
	ds_write_b16 v67, v0
	ds_write_b16 v67, v1 offset:64
	ds_write_b16 v67, v3 offset:128
	;; [unrolled: 1-line block ×3, first 2 shown]
	s_waitcnt lgkmcnt(0)
	s_barrier
	ds_read_b64 v[0:1], v64
	s_and_b64 s[2:3], s[6:7], s[2:3]
	v_cndmask_b32_e64 v3, v35, v36, s[2:3]
	v_add_u32_e32 v3, v2, v3
	v_cvt_f16_f32_e32 v4, v13
	s_waitcnt lgkmcnt(0)
	buffer_store_dwordx2 v[0:1], v3, s[20:23], 0 offen
	v_cvt_f16_f32_e32 v0, v10
	v_cvt_f16_f32_e32 v1, v11
	v_cvt_f16_f32_e32 v3, v12
	s_waitcnt lgkmcnt(0)
	s_barrier
	ds_write_b16 v67, v0
	ds_write_b16 v67, v1 offset:64
	ds_write_b16 v67, v3 offset:128
	;; [unrolled: 1-line block ×3, first 2 shown]
	s_waitcnt lgkmcnt(0)
	s_barrier
	ds_read_b64 v[0:1], v64
	s_and_b64 s[0:1], s[6:7], s[0:1]
	v_cndmask_b32_e64 v3, v37, v38, s[0:1]
	v_add_u32_e32 v2, v2, v3
	v_cvt_f16_f32_e32 v3, v17
	s_waitcnt lgkmcnt(0)
	buffer_store_dwordx2 v[0:1], v2, s[20:23], 0 offen
	v_cvt_f16_f32_e32 v0, v14
	v_cvt_f16_f32_e32 v1, v15
	;; [unrolled: 1-line block ×3, first 2 shown]
	s_waitcnt lgkmcnt(0)
	s_barrier
	ds_write_b16 v67, v0
	ds_write_b16 v67, v1 offset:64
	ds_write_b16 v67, v2 offset:128
	;; [unrolled: 1-line block ×3, first 2 shown]
	s_waitcnt lgkmcnt(0)
	s_barrier
	ds_read_b64 v[0:1], v64
	s_and_b64 s[0:1], vcc, s[6:7]
	v_add_u32_e32 v2, s10, v34
	v_cndmask_b32_e64 v3, v65, 0, s[0:1]
	v_lshl_add_u32 v2, v2, 1, v3
	s_waitcnt lgkmcnt(0)
	buffer_store_dwordx2 v[0:1], v2, s[20:23], 0 offen
	s_endpgm
	.section	.rodata,"a",@progbits
	.p2align	6, 0x0
	.amdhsa_kernel _ZN2ck27kernel_gemm_xdl_cshuffle_v3INS_28GridwiseGemm_xdl_cshuffle_v3INS_13tensor_layout4gemm8RowMajorENS3_11ColumnMajorES4_NS_9f8_fnuz_tENS_7pk_i4_tEfDF16_DF16_NS_16tensor_operation12element_wise11PassThroughESA_SA_LNS8_6device18GemmSpecializationE0ELi256ELi128ELi128ELi128ELi16ELi16ELi16ELi16ELi4ELi4ENS_8SequenceIJLi8ELi32ELi1EEEENSD_IJLi1ELi0ELi2EEEESF_Li2ELi16ELi16ELb0ELi0ENSD_IJLi4ELi64ELi1EEEESF_SF_Li2ELi16ELi16ELb0ELi0ELi1ELi1ENSD_IJLi1ELi32ELi1ELi8EEEELi4ELNS_26BlockGemmPipelineSchedulerE1ELNS_24BlockGemmPipelineVersionE1ES6_S6_Lb0ELb1ELb0ELi0ELb0EEELb1ELNS_25InMemoryDataOperationEnumE0ELi2ELNS_10TailNumberE2EEEvNT_8ArgumentE
		.amdhsa_group_segment_fixed_size 24576
		.amdhsa_private_segment_fixed_size 0
		.amdhsa_kernarg_size 112
		.amdhsa_user_sgpr_count 2
		.amdhsa_user_sgpr_dispatch_ptr 0
		.amdhsa_user_sgpr_queue_ptr 0
		.amdhsa_user_sgpr_kernarg_segment_ptr 1
		.amdhsa_user_sgpr_dispatch_id 0
		.amdhsa_user_sgpr_kernarg_preload_length 0
		.amdhsa_user_sgpr_kernarg_preload_offset 0
		.amdhsa_user_sgpr_private_segment_size 0
		.amdhsa_uses_dynamic_stack 0
		.amdhsa_enable_private_segment 0
		.amdhsa_system_sgpr_workgroup_id_x 1
		.amdhsa_system_sgpr_workgroup_id_y 0
		.amdhsa_system_sgpr_workgroup_id_z 1
		.amdhsa_system_sgpr_workgroup_info 0
		.amdhsa_system_vgpr_workitem_id 0
		.amdhsa_next_free_vgpr 200
		.amdhsa_next_free_sgpr 91
		.amdhsa_accum_offset 200
		.amdhsa_reserve_vcc 1
		.amdhsa_float_round_mode_32 0
		.amdhsa_float_round_mode_16_64 0
		.amdhsa_float_denorm_mode_32 3
		.amdhsa_float_denorm_mode_16_64 3
		.amdhsa_dx10_clamp 1
		.amdhsa_ieee_mode 1
		.amdhsa_fp16_overflow 0
		.amdhsa_tg_split 0
		.amdhsa_exception_fp_ieee_invalid_op 0
		.amdhsa_exception_fp_denorm_src 0
		.amdhsa_exception_fp_ieee_div_zero 0
		.amdhsa_exception_fp_ieee_overflow 0
		.amdhsa_exception_fp_ieee_underflow 0
		.amdhsa_exception_fp_ieee_inexact 0
		.amdhsa_exception_int_div_zero 0
	.end_amdhsa_kernel
	.section	.text._ZN2ck27kernel_gemm_xdl_cshuffle_v3INS_28GridwiseGemm_xdl_cshuffle_v3INS_13tensor_layout4gemm8RowMajorENS3_11ColumnMajorES4_NS_9f8_fnuz_tENS_7pk_i4_tEfDF16_DF16_NS_16tensor_operation12element_wise11PassThroughESA_SA_LNS8_6device18GemmSpecializationE0ELi256ELi128ELi128ELi128ELi16ELi16ELi16ELi16ELi4ELi4ENS_8SequenceIJLi8ELi32ELi1EEEENSD_IJLi1ELi0ELi2EEEESF_Li2ELi16ELi16ELb0ELi0ENSD_IJLi4ELi64ELi1EEEESF_SF_Li2ELi16ELi16ELb0ELi0ELi1ELi1ENSD_IJLi1ELi32ELi1ELi8EEEELi4ELNS_26BlockGemmPipelineSchedulerE1ELNS_24BlockGemmPipelineVersionE1ES6_S6_Lb0ELb1ELb0ELi0ELb0EEELb1ELNS_25InMemoryDataOperationEnumE0ELi2ELNS_10TailNumberE2EEEvNT_8ArgumentE,"axG",@progbits,_ZN2ck27kernel_gemm_xdl_cshuffle_v3INS_28GridwiseGemm_xdl_cshuffle_v3INS_13tensor_layout4gemm8RowMajorENS3_11ColumnMajorES4_NS_9f8_fnuz_tENS_7pk_i4_tEfDF16_DF16_NS_16tensor_operation12element_wise11PassThroughESA_SA_LNS8_6device18GemmSpecializationE0ELi256ELi128ELi128ELi128ELi16ELi16ELi16ELi16ELi4ELi4ENS_8SequenceIJLi8ELi32ELi1EEEENSD_IJLi1ELi0ELi2EEEESF_Li2ELi16ELi16ELb0ELi0ENSD_IJLi4ELi64ELi1EEEESF_SF_Li2ELi16ELi16ELb0ELi0ELi1ELi1ENSD_IJLi1ELi32ELi1ELi8EEEELi4ELNS_26BlockGemmPipelineSchedulerE1ELNS_24BlockGemmPipelineVersionE1ES6_S6_Lb0ELb1ELb0ELi0ELb0EEELb1ELNS_25InMemoryDataOperationEnumE0ELi2ELNS_10TailNumberE2EEEvNT_8ArgumentE,comdat
.Lfunc_end3:
	.size	_ZN2ck27kernel_gemm_xdl_cshuffle_v3INS_28GridwiseGemm_xdl_cshuffle_v3INS_13tensor_layout4gemm8RowMajorENS3_11ColumnMajorES4_NS_9f8_fnuz_tENS_7pk_i4_tEfDF16_DF16_NS_16tensor_operation12element_wise11PassThroughESA_SA_LNS8_6device18GemmSpecializationE0ELi256ELi128ELi128ELi128ELi16ELi16ELi16ELi16ELi4ELi4ENS_8SequenceIJLi8ELi32ELi1EEEENSD_IJLi1ELi0ELi2EEEESF_Li2ELi16ELi16ELb0ELi0ENSD_IJLi4ELi64ELi1EEEESF_SF_Li2ELi16ELi16ELb0ELi0ELi1ELi1ENSD_IJLi1ELi32ELi1ELi8EEEELi4ELNS_26BlockGemmPipelineSchedulerE1ELNS_24BlockGemmPipelineVersionE1ES6_S6_Lb0ELb1ELb0ELi0ELb0EEELb1ELNS_25InMemoryDataOperationEnumE0ELi2ELNS_10TailNumberE2EEEvNT_8ArgumentE, .Lfunc_end3-_ZN2ck27kernel_gemm_xdl_cshuffle_v3INS_28GridwiseGemm_xdl_cshuffle_v3INS_13tensor_layout4gemm8RowMajorENS3_11ColumnMajorES4_NS_9f8_fnuz_tENS_7pk_i4_tEfDF16_DF16_NS_16tensor_operation12element_wise11PassThroughESA_SA_LNS8_6device18GemmSpecializationE0ELi256ELi128ELi128ELi128ELi16ELi16ELi16ELi16ELi4ELi4ENS_8SequenceIJLi8ELi32ELi1EEEENSD_IJLi1ELi0ELi2EEEESF_Li2ELi16ELi16ELb0ELi0ENSD_IJLi4ELi64ELi1EEEESF_SF_Li2ELi16ELi16ELb0ELi0ELi1ELi1ENSD_IJLi1ELi32ELi1ELi8EEEELi4ELNS_26BlockGemmPipelineSchedulerE1ELNS_24BlockGemmPipelineVersionE1ES6_S6_Lb0ELb1ELb0ELi0ELb0EEELb1ELNS_25InMemoryDataOperationEnumE0ELi2ELNS_10TailNumberE2EEEvNT_8ArgumentE
                                        ; -- End function
	.set _ZN2ck27kernel_gemm_xdl_cshuffle_v3INS_28GridwiseGemm_xdl_cshuffle_v3INS_13tensor_layout4gemm8RowMajorENS3_11ColumnMajorES4_NS_9f8_fnuz_tENS_7pk_i4_tEfDF16_DF16_NS_16tensor_operation12element_wise11PassThroughESA_SA_LNS8_6device18GemmSpecializationE0ELi256ELi128ELi128ELi128ELi16ELi16ELi16ELi16ELi4ELi4ENS_8SequenceIJLi8ELi32ELi1EEEENSD_IJLi1ELi0ELi2EEEESF_Li2ELi16ELi16ELb0ELi0ENSD_IJLi4ELi64ELi1EEEESF_SF_Li2ELi16ELi16ELb0ELi0ELi1ELi1ENSD_IJLi1ELi32ELi1ELi8EEEELi4ELNS_26BlockGemmPipelineSchedulerE1ELNS_24BlockGemmPipelineVersionE1ES6_S6_Lb0ELb1ELb0ELi0ELb0EEELb1ELNS_25InMemoryDataOperationEnumE0ELi2ELNS_10TailNumberE2EEEvNT_8ArgumentE.num_vgpr, 200
	.set _ZN2ck27kernel_gemm_xdl_cshuffle_v3INS_28GridwiseGemm_xdl_cshuffle_v3INS_13tensor_layout4gemm8RowMajorENS3_11ColumnMajorES4_NS_9f8_fnuz_tENS_7pk_i4_tEfDF16_DF16_NS_16tensor_operation12element_wise11PassThroughESA_SA_LNS8_6device18GemmSpecializationE0ELi256ELi128ELi128ELi128ELi16ELi16ELi16ELi16ELi4ELi4ENS_8SequenceIJLi8ELi32ELi1EEEENSD_IJLi1ELi0ELi2EEEESF_Li2ELi16ELi16ELb0ELi0ENSD_IJLi4ELi64ELi1EEEESF_SF_Li2ELi16ELi16ELb0ELi0ELi1ELi1ENSD_IJLi1ELi32ELi1ELi8EEEELi4ELNS_26BlockGemmPipelineSchedulerE1ELNS_24BlockGemmPipelineVersionE1ES6_S6_Lb0ELb1ELb0ELi0ELb0EEELb1ELNS_25InMemoryDataOperationEnumE0ELi2ELNS_10TailNumberE2EEEvNT_8ArgumentE.num_agpr, 0
	.set _ZN2ck27kernel_gemm_xdl_cshuffle_v3INS_28GridwiseGemm_xdl_cshuffle_v3INS_13tensor_layout4gemm8RowMajorENS3_11ColumnMajorES4_NS_9f8_fnuz_tENS_7pk_i4_tEfDF16_DF16_NS_16tensor_operation12element_wise11PassThroughESA_SA_LNS8_6device18GemmSpecializationE0ELi256ELi128ELi128ELi128ELi16ELi16ELi16ELi16ELi4ELi4ENS_8SequenceIJLi8ELi32ELi1EEEENSD_IJLi1ELi0ELi2EEEESF_Li2ELi16ELi16ELb0ELi0ENSD_IJLi4ELi64ELi1EEEESF_SF_Li2ELi16ELi16ELb0ELi0ELi1ELi1ENSD_IJLi1ELi32ELi1ELi8EEEELi4ELNS_26BlockGemmPipelineSchedulerE1ELNS_24BlockGemmPipelineVersionE1ES6_S6_Lb0ELb1ELb0ELi0ELb0EEELb1ELNS_25InMemoryDataOperationEnumE0ELi2ELNS_10TailNumberE2EEEvNT_8ArgumentE.numbered_sgpr, 30
	.set _ZN2ck27kernel_gemm_xdl_cshuffle_v3INS_28GridwiseGemm_xdl_cshuffle_v3INS_13tensor_layout4gemm8RowMajorENS3_11ColumnMajorES4_NS_9f8_fnuz_tENS_7pk_i4_tEfDF16_DF16_NS_16tensor_operation12element_wise11PassThroughESA_SA_LNS8_6device18GemmSpecializationE0ELi256ELi128ELi128ELi128ELi16ELi16ELi16ELi16ELi4ELi4ENS_8SequenceIJLi8ELi32ELi1EEEENSD_IJLi1ELi0ELi2EEEESF_Li2ELi16ELi16ELb0ELi0ENSD_IJLi4ELi64ELi1EEEESF_SF_Li2ELi16ELi16ELb0ELi0ELi1ELi1ENSD_IJLi1ELi32ELi1ELi8EEEELi4ELNS_26BlockGemmPipelineSchedulerE1ELNS_24BlockGemmPipelineVersionE1ES6_S6_Lb0ELb1ELb0ELi0ELb0EEELb1ELNS_25InMemoryDataOperationEnumE0ELi2ELNS_10TailNumberE2EEEvNT_8ArgumentE.num_named_barrier, 0
	.set _ZN2ck27kernel_gemm_xdl_cshuffle_v3INS_28GridwiseGemm_xdl_cshuffle_v3INS_13tensor_layout4gemm8RowMajorENS3_11ColumnMajorES4_NS_9f8_fnuz_tENS_7pk_i4_tEfDF16_DF16_NS_16tensor_operation12element_wise11PassThroughESA_SA_LNS8_6device18GemmSpecializationE0ELi256ELi128ELi128ELi128ELi16ELi16ELi16ELi16ELi4ELi4ENS_8SequenceIJLi8ELi32ELi1EEEENSD_IJLi1ELi0ELi2EEEESF_Li2ELi16ELi16ELb0ELi0ENSD_IJLi4ELi64ELi1EEEESF_SF_Li2ELi16ELi16ELb0ELi0ELi1ELi1ENSD_IJLi1ELi32ELi1ELi8EEEELi4ELNS_26BlockGemmPipelineSchedulerE1ELNS_24BlockGemmPipelineVersionE1ES6_S6_Lb0ELb1ELb0ELi0ELb0EEELb1ELNS_25InMemoryDataOperationEnumE0ELi2ELNS_10TailNumberE2EEEvNT_8ArgumentE.private_seg_size, 0
	.set _ZN2ck27kernel_gemm_xdl_cshuffle_v3INS_28GridwiseGemm_xdl_cshuffle_v3INS_13tensor_layout4gemm8RowMajorENS3_11ColumnMajorES4_NS_9f8_fnuz_tENS_7pk_i4_tEfDF16_DF16_NS_16tensor_operation12element_wise11PassThroughESA_SA_LNS8_6device18GemmSpecializationE0ELi256ELi128ELi128ELi128ELi16ELi16ELi16ELi16ELi4ELi4ENS_8SequenceIJLi8ELi32ELi1EEEENSD_IJLi1ELi0ELi2EEEESF_Li2ELi16ELi16ELb0ELi0ENSD_IJLi4ELi64ELi1EEEESF_SF_Li2ELi16ELi16ELb0ELi0ELi1ELi1ENSD_IJLi1ELi32ELi1ELi8EEEELi4ELNS_26BlockGemmPipelineSchedulerE1ELNS_24BlockGemmPipelineVersionE1ES6_S6_Lb0ELb1ELb0ELi0ELb0EEELb1ELNS_25InMemoryDataOperationEnumE0ELi2ELNS_10TailNumberE2EEEvNT_8ArgumentE.uses_vcc, 1
	.set _ZN2ck27kernel_gemm_xdl_cshuffle_v3INS_28GridwiseGemm_xdl_cshuffle_v3INS_13tensor_layout4gemm8RowMajorENS3_11ColumnMajorES4_NS_9f8_fnuz_tENS_7pk_i4_tEfDF16_DF16_NS_16tensor_operation12element_wise11PassThroughESA_SA_LNS8_6device18GemmSpecializationE0ELi256ELi128ELi128ELi128ELi16ELi16ELi16ELi16ELi4ELi4ENS_8SequenceIJLi8ELi32ELi1EEEENSD_IJLi1ELi0ELi2EEEESF_Li2ELi16ELi16ELb0ELi0ENSD_IJLi4ELi64ELi1EEEESF_SF_Li2ELi16ELi16ELb0ELi0ELi1ELi1ENSD_IJLi1ELi32ELi1ELi8EEEELi4ELNS_26BlockGemmPipelineSchedulerE1ELNS_24BlockGemmPipelineVersionE1ES6_S6_Lb0ELb1ELb0ELi0ELb0EEELb1ELNS_25InMemoryDataOperationEnumE0ELi2ELNS_10TailNumberE2EEEvNT_8ArgumentE.uses_flat_scratch, 0
	.set _ZN2ck27kernel_gemm_xdl_cshuffle_v3INS_28GridwiseGemm_xdl_cshuffle_v3INS_13tensor_layout4gemm8RowMajorENS3_11ColumnMajorES4_NS_9f8_fnuz_tENS_7pk_i4_tEfDF16_DF16_NS_16tensor_operation12element_wise11PassThroughESA_SA_LNS8_6device18GemmSpecializationE0ELi256ELi128ELi128ELi128ELi16ELi16ELi16ELi16ELi4ELi4ENS_8SequenceIJLi8ELi32ELi1EEEENSD_IJLi1ELi0ELi2EEEESF_Li2ELi16ELi16ELb0ELi0ENSD_IJLi4ELi64ELi1EEEESF_SF_Li2ELi16ELi16ELb0ELi0ELi1ELi1ENSD_IJLi1ELi32ELi1ELi8EEEELi4ELNS_26BlockGemmPipelineSchedulerE1ELNS_24BlockGemmPipelineVersionE1ES6_S6_Lb0ELb1ELb0ELi0ELb0EEELb1ELNS_25InMemoryDataOperationEnumE0ELi2ELNS_10TailNumberE2EEEvNT_8ArgumentE.has_dyn_sized_stack, 0
	.set _ZN2ck27kernel_gemm_xdl_cshuffle_v3INS_28GridwiseGemm_xdl_cshuffle_v3INS_13tensor_layout4gemm8RowMajorENS3_11ColumnMajorES4_NS_9f8_fnuz_tENS_7pk_i4_tEfDF16_DF16_NS_16tensor_operation12element_wise11PassThroughESA_SA_LNS8_6device18GemmSpecializationE0ELi256ELi128ELi128ELi128ELi16ELi16ELi16ELi16ELi4ELi4ENS_8SequenceIJLi8ELi32ELi1EEEENSD_IJLi1ELi0ELi2EEEESF_Li2ELi16ELi16ELb0ELi0ENSD_IJLi4ELi64ELi1EEEESF_SF_Li2ELi16ELi16ELb0ELi0ELi1ELi1ENSD_IJLi1ELi32ELi1ELi8EEEELi4ELNS_26BlockGemmPipelineSchedulerE1ELNS_24BlockGemmPipelineVersionE1ES6_S6_Lb0ELb1ELb0ELi0ELb0EEELb1ELNS_25InMemoryDataOperationEnumE0ELi2ELNS_10TailNumberE2EEEvNT_8ArgumentE.has_recursion, 0
	.set _ZN2ck27kernel_gemm_xdl_cshuffle_v3INS_28GridwiseGemm_xdl_cshuffle_v3INS_13tensor_layout4gemm8RowMajorENS3_11ColumnMajorES4_NS_9f8_fnuz_tENS_7pk_i4_tEfDF16_DF16_NS_16tensor_operation12element_wise11PassThroughESA_SA_LNS8_6device18GemmSpecializationE0ELi256ELi128ELi128ELi128ELi16ELi16ELi16ELi16ELi4ELi4ENS_8SequenceIJLi8ELi32ELi1EEEENSD_IJLi1ELi0ELi2EEEESF_Li2ELi16ELi16ELb0ELi0ENSD_IJLi4ELi64ELi1EEEESF_SF_Li2ELi16ELi16ELb0ELi0ELi1ELi1ENSD_IJLi1ELi32ELi1ELi8EEEELi4ELNS_26BlockGemmPipelineSchedulerE1ELNS_24BlockGemmPipelineVersionE1ES6_S6_Lb0ELb1ELb0ELi0ELb0EEELb1ELNS_25InMemoryDataOperationEnumE0ELi2ELNS_10TailNumberE2EEEvNT_8ArgumentE.has_indirect_call, 0
	.section	.AMDGPU.csdata,"",@progbits
; Kernel info:
; codeLenInByte = 15952
; TotalNumSgprs: 36
; NumVgprs: 200
; NumAgprs: 0
; TotalNumVgprs: 200
; ScratchSize: 0
; MemoryBound: 0
; FloatMode: 240
; IeeeMode: 1
; LDSByteSize: 24576 bytes/workgroup (compile time only)
; SGPRBlocks: 12
; VGPRBlocks: 24
; NumSGPRsForWavesPerEU: 97
; NumVGPRsForWavesPerEU: 200
; AccumOffset: 200
; Occupancy: 2
; WaveLimiterHint : 0
; COMPUTE_PGM_RSRC2:SCRATCH_EN: 0
; COMPUTE_PGM_RSRC2:USER_SGPR: 2
; COMPUTE_PGM_RSRC2:TRAP_HANDLER: 0
; COMPUTE_PGM_RSRC2:TGID_X_EN: 1
; COMPUTE_PGM_RSRC2:TGID_Y_EN: 0
; COMPUTE_PGM_RSRC2:TGID_Z_EN: 1
; COMPUTE_PGM_RSRC2:TIDIG_COMP_CNT: 0
; COMPUTE_PGM_RSRC3_GFX90A:ACCUM_OFFSET: 49
; COMPUTE_PGM_RSRC3_GFX90A:TG_SPLIT: 0
	.section	.text._ZN2ck27kernel_gemm_xdl_cshuffle_v3INS_28GridwiseGemm_xdl_cshuffle_v3INS_13tensor_layout4gemm8RowMajorENS3_11ColumnMajorES4_NS_9f8_fnuz_tENS_7pk_i4_tEfDF16_DF16_NS_16tensor_operation12element_wise11PassThroughESA_SA_LNS8_6device18GemmSpecializationE0ELi256ELi128ELi128ELi128ELi16ELi16ELi16ELi16ELi4ELi4ENS_8SequenceIJLi8ELi32ELi1EEEENSD_IJLi1ELi0ELi2EEEESF_Li2ELi16ELi16ELb0ELi0ENSD_IJLi4ELi64ELi1EEEESF_SF_Li2ELi16ELi16ELb0ELi0ELi1ELi1ENSD_IJLi1ELi32ELi1ELi8EEEELi4ELNS_26BlockGemmPipelineSchedulerE1ELNS_24BlockGemmPipelineVersionE1ES6_S6_Lb0ELb1ELb0ELi0ELb0EEELb1ELNS_25InMemoryDataOperationEnumE0ELi2ELNS_10TailNumberE10EEEvNT_8ArgumentE,"axG",@progbits,_ZN2ck27kernel_gemm_xdl_cshuffle_v3INS_28GridwiseGemm_xdl_cshuffle_v3INS_13tensor_layout4gemm8RowMajorENS3_11ColumnMajorES4_NS_9f8_fnuz_tENS_7pk_i4_tEfDF16_DF16_NS_16tensor_operation12element_wise11PassThroughESA_SA_LNS8_6device18GemmSpecializationE0ELi256ELi128ELi128ELi128ELi16ELi16ELi16ELi16ELi4ELi4ENS_8SequenceIJLi8ELi32ELi1EEEENSD_IJLi1ELi0ELi2EEEESF_Li2ELi16ELi16ELb0ELi0ENSD_IJLi4ELi64ELi1EEEESF_SF_Li2ELi16ELi16ELb0ELi0ELi1ELi1ENSD_IJLi1ELi32ELi1ELi8EEEELi4ELNS_26BlockGemmPipelineSchedulerE1ELNS_24BlockGemmPipelineVersionE1ES6_S6_Lb0ELb1ELb0ELi0ELb0EEELb1ELNS_25InMemoryDataOperationEnumE0ELi2ELNS_10TailNumberE10EEEvNT_8ArgumentE,comdat
	.protected	_ZN2ck27kernel_gemm_xdl_cshuffle_v3INS_28GridwiseGemm_xdl_cshuffle_v3INS_13tensor_layout4gemm8RowMajorENS3_11ColumnMajorES4_NS_9f8_fnuz_tENS_7pk_i4_tEfDF16_DF16_NS_16tensor_operation12element_wise11PassThroughESA_SA_LNS8_6device18GemmSpecializationE0ELi256ELi128ELi128ELi128ELi16ELi16ELi16ELi16ELi4ELi4ENS_8SequenceIJLi8ELi32ELi1EEEENSD_IJLi1ELi0ELi2EEEESF_Li2ELi16ELi16ELb0ELi0ENSD_IJLi4ELi64ELi1EEEESF_SF_Li2ELi16ELi16ELb0ELi0ELi1ELi1ENSD_IJLi1ELi32ELi1ELi8EEEELi4ELNS_26BlockGemmPipelineSchedulerE1ELNS_24BlockGemmPipelineVersionE1ES6_S6_Lb0ELb1ELb0ELi0ELb0EEELb1ELNS_25InMemoryDataOperationEnumE0ELi2ELNS_10TailNumberE10EEEvNT_8ArgumentE ; -- Begin function _ZN2ck27kernel_gemm_xdl_cshuffle_v3INS_28GridwiseGemm_xdl_cshuffle_v3INS_13tensor_layout4gemm8RowMajorENS3_11ColumnMajorES4_NS_9f8_fnuz_tENS_7pk_i4_tEfDF16_DF16_NS_16tensor_operation12element_wise11PassThroughESA_SA_LNS8_6device18GemmSpecializationE0ELi256ELi128ELi128ELi128ELi16ELi16ELi16ELi16ELi4ELi4ENS_8SequenceIJLi8ELi32ELi1EEEENSD_IJLi1ELi0ELi2EEEESF_Li2ELi16ELi16ELb0ELi0ENSD_IJLi4ELi64ELi1EEEESF_SF_Li2ELi16ELi16ELb0ELi0ELi1ELi1ENSD_IJLi1ELi32ELi1ELi8EEEELi4ELNS_26BlockGemmPipelineSchedulerE1ELNS_24BlockGemmPipelineVersionE1ES6_S6_Lb0ELb1ELb0ELi0ELb0EEELb1ELNS_25InMemoryDataOperationEnumE0ELi2ELNS_10TailNumberE10EEEvNT_8ArgumentE
	.globl	_ZN2ck27kernel_gemm_xdl_cshuffle_v3INS_28GridwiseGemm_xdl_cshuffle_v3INS_13tensor_layout4gemm8RowMajorENS3_11ColumnMajorES4_NS_9f8_fnuz_tENS_7pk_i4_tEfDF16_DF16_NS_16tensor_operation12element_wise11PassThroughESA_SA_LNS8_6device18GemmSpecializationE0ELi256ELi128ELi128ELi128ELi16ELi16ELi16ELi16ELi4ELi4ENS_8SequenceIJLi8ELi32ELi1EEEENSD_IJLi1ELi0ELi2EEEESF_Li2ELi16ELi16ELb0ELi0ENSD_IJLi4ELi64ELi1EEEESF_SF_Li2ELi16ELi16ELb0ELi0ELi1ELi1ENSD_IJLi1ELi32ELi1ELi8EEEELi4ELNS_26BlockGemmPipelineSchedulerE1ELNS_24BlockGemmPipelineVersionE1ES6_S6_Lb0ELb1ELb0ELi0ELb0EEELb1ELNS_25InMemoryDataOperationEnumE0ELi2ELNS_10TailNumberE10EEEvNT_8ArgumentE
	.p2align	8
	.type	_ZN2ck27kernel_gemm_xdl_cshuffle_v3INS_28GridwiseGemm_xdl_cshuffle_v3INS_13tensor_layout4gemm8RowMajorENS3_11ColumnMajorES4_NS_9f8_fnuz_tENS_7pk_i4_tEfDF16_DF16_NS_16tensor_operation12element_wise11PassThroughESA_SA_LNS8_6device18GemmSpecializationE0ELi256ELi128ELi128ELi128ELi16ELi16ELi16ELi16ELi4ELi4ENS_8SequenceIJLi8ELi32ELi1EEEENSD_IJLi1ELi0ELi2EEEESF_Li2ELi16ELi16ELb0ELi0ENSD_IJLi4ELi64ELi1EEEESF_SF_Li2ELi16ELi16ELb0ELi0ELi1ELi1ENSD_IJLi1ELi32ELi1ELi8EEEELi4ELNS_26BlockGemmPipelineSchedulerE1ELNS_24BlockGemmPipelineVersionE1ES6_S6_Lb0ELb1ELb0ELi0ELb0EEELb1ELNS_25InMemoryDataOperationEnumE0ELi2ELNS_10TailNumberE10EEEvNT_8ArgumentE,@function
_ZN2ck27kernel_gemm_xdl_cshuffle_v3INS_28GridwiseGemm_xdl_cshuffle_v3INS_13tensor_layout4gemm8RowMajorENS3_11ColumnMajorES4_NS_9f8_fnuz_tENS_7pk_i4_tEfDF16_DF16_NS_16tensor_operation12element_wise11PassThroughESA_SA_LNS8_6device18GemmSpecializationE0ELi256ELi128ELi128ELi128ELi16ELi16ELi16ELi16ELi4ELi4ENS_8SequenceIJLi8ELi32ELi1EEEENSD_IJLi1ELi0ELi2EEEESF_Li2ELi16ELi16ELb0ELi0ENSD_IJLi4ELi64ELi1EEEESF_SF_Li2ELi16ELi16ELb0ELi0ELi1ELi1ENSD_IJLi1ELi32ELi1ELi8EEEELi4ELNS_26BlockGemmPipelineSchedulerE1ELNS_24BlockGemmPipelineVersionE1ES6_S6_Lb0ELb1ELb0ELi0ELb0EEELb1ELNS_25InMemoryDataOperationEnumE0ELi2ELNS_10TailNumberE10EEEvNT_8ArgumentE: ; @_ZN2ck27kernel_gemm_xdl_cshuffle_v3INS_28GridwiseGemm_xdl_cshuffle_v3INS_13tensor_layout4gemm8RowMajorENS3_11ColumnMajorES4_NS_9f8_fnuz_tENS_7pk_i4_tEfDF16_DF16_NS_16tensor_operation12element_wise11PassThroughESA_SA_LNS8_6device18GemmSpecializationE0ELi256ELi128ELi128ELi128ELi16ELi16ELi16ELi16ELi4ELi4ENS_8SequenceIJLi8ELi32ELi1EEEENSD_IJLi1ELi0ELi2EEEESF_Li2ELi16ELi16ELb0ELi0ENSD_IJLi4ELi64ELi1EEEESF_SF_Li2ELi16ELi16ELb0ELi0ELi1ELi1ENSD_IJLi1ELi32ELi1ELi8EEEELi4ELNS_26BlockGemmPipelineSchedulerE1ELNS_24BlockGemmPipelineVersionE1ES6_S6_Lb0ELb1ELb0ELi0ELb0EEELb1ELNS_25InMemoryDataOperationEnumE0ELi2ELNS_10TailNumberE10EEEvNT_8ArgumentE
; %bb.0:
	s_load_dwordx8 s[12:19], s[0:1], 0x10
	s_load_dwordx2 s[8:9], s[0:1], 0x60
	s_waitcnt lgkmcnt(0)
	s_load_dword s19, s[0:1], 0x68
	s_load_dword s22, s[0:1], 0x3c
	s_load_dwordx4 s[4:7], s[0:1], 0x50
	s_cmp_gt_i32 s18, 1
	s_cselect_b64 s[10:11], -1, 0
	s_waitcnt lgkmcnt(0)
	s_bitcmp1_b32 s19, 0
	s_cselect_b64 s[20:21], -1, 0
	s_and_b64 s[10:11], s[10:11], s[20:21]
	s_andn2_b64 vcc, exec, s[10:11]
	s_mov_b64 s[10:11], 0
	s_cbranch_vccnz .LBB4_2
; %bb.1:
	s_mul_i32 s10, s12, s3
	s_mul_i32 s10, s10, s13
	s_ashr_i32 s11, s10, 31
.LBB4_2:
	s_load_dword s23, s[0:1], 0x34
	s_add_i32 s20, s12, -1
	s_cmpk_lt_u32 s20, 0x80
	s_mov_b32 s21, 0
	s_cbranch_scc1 .LBB4_6
; %bb.3:
	s_add_i32 s0, s13, -1
	s_cmpk_lt_u32 s0, 0x80
	s_mov_b32 s0, 0
	s_cbranch_scc1 .LBB4_10
; %bb.4:
	s_add_i32 s0, s12, 0x7f
	s_ashr_i32 s1, s0, 31
	s_lshr_b32 s1, s1, 25
	s_add_i32 s0, s0, s1
	s_ashr_i32 s24, s0, 7
	s_add_i32 s0, s13, 0x7f
	s_ashr_i32 s1, s0, 31
	s_lshr_b32 s1, s1, 25
	s_add_i32 s0, s0, s1
	s_ashr_i32 s19, s0, 7
	s_mul_i32 s0, s19, s24
	s_add_i32 s1, s0, 7
	s_ashr_i32 s25, s1, 31
	s_lshr_b32 s25, s25, 29
	s_add_i32 s1, s1, s25
	s_ashr_i32 s25, s1, 3
	s_and_b32 s1, s1, -8
	s_sub_i32 s26, s0, s1
	s_ashr_i32 s0, s2, 31
	s_lshr_b32 s0, s0, 29
	s_add_i32 s28, s2, s0
	s_and_b32 s0, s28, -8
	s_add_i32 s26, s26, 8
	s_sub_i32 s27, s2, s0
	s_cmp_gt_i32 s27, s26
	s_cbranch_scc1 .LBB4_7
; %bb.5:
	s_mul_i32 s2, s25, s27
	s_ashr_i32 s0, s28, 3
	s_cbranch_execz .LBB4_8
	s_branch .LBB4_9
.LBB4_6:
	s_mov_b32 s19, 0
	s_branch .LBB4_11
.LBB4_7:
                                        ; implicit-def: $sgpr2
	s_ashr_i32 s0, s28, 3
.LBB4_8:
	s_add_i32 s1, s25, -1
	s_mul_i32 s1, s1, s27
	s_add_i32 s2, s26, s1
.LBB4_9:
	s_abs_i32 s1, s19
	v_cvt_f32_u32_e32 v1, s1
	s_sub_i32 s26, 0, s1
	s_add_i32 s0, s2, s0
	s_abs_i32 s25, s0
	v_rcp_iflag_f32_e32 v1, v1
	s_xor_b32 s2, s0, s19
	s_ashr_i32 s2, s2, 31
	v_mul_f32_e32 v1, 0x4f7ffffe, v1
	v_cvt_u32_f32_e32 v1, v1
	s_nop 0
	v_readfirstlane_b32 s27, v1
	s_mul_i32 s26, s26, s27
	s_mul_hi_u32 s26, s27, s26
	s_add_i32 s27, s27, s26
	s_mul_hi_u32 s26, s25, s27
	s_mul_i32 s27, s26, s1
	s_sub_i32 s25, s25, s27
	s_add_i32 s28, s26, 1
	s_sub_i32 s27, s25, s1
	s_cmp_ge_u32 s25, s1
	s_cselect_b32 s26, s28, s26
	s_cselect_b32 s25, s27, s25
	s_add_i32 s27, s26, 1
	s_cmp_ge_u32 s25, s1
	s_cselect_b32 s1, s27, s26
	s_xor_b32 s1, s1, s2
	s_lshr_b32 s25, s24, 30
	s_sub_i32 s1, s1, s2
	s_add_i32 s25, s24, s25
	s_mul_i32 s2, s1, s19
	s_sub_i32 s0, s0, s2
	s_and_b32 s2, s25, -4
	s_sub_i32 s24, s24, s2
	s_cmp_ge_i32 s1, s2
	s_cselect_b32 s2, s24, 4
	s_abs_i32 s25, s2
	v_cvt_f32_u32_e32 v1, s25
	s_ashr_i32 s24, s1, 31
	s_lshr_b32 s24, s24, 30
	s_add_i32 s24, s1, s24
	v_rcp_iflag_f32_e32 v1, v1
	s_and_b32 s24, s24, -4
	s_sub_i32 s24, s1, s24
	s_sub_i32 s27, 0, s25
	v_mul_f32_e32 v1, 0x4f7ffffe, v1
	v_cvt_u32_f32_e32 v1, v1
	s_mul_i32 s19, s24, s19
	s_add_i32 s19, s19, s0
	s_abs_i32 s26, s19
	v_readfirstlane_b32 s28, v1
	s_mul_i32 s27, s27, s28
	s_mul_hi_u32 s27, s28, s27
	s_add_i32 s28, s28, s27
	s_mul_hi_u32 s27, s26, s28
	s_mul_i32 s28, s27, s25
	s_xor_b32 s0, s19, s2
	s_sub_i32 s26, s26, s28
	s_ashr_i32 s0, s0, 31
	s_add_i32 s28, s27, 1
	s_sub_i32 s29, s26, s25
	s_cmp_ge_u32 s26, s25
	s_cselect_b32 s27, s28, s27
	s_cselect_b32 s26, s29, s26
	s_add_i32 s28, s27, 1
	s_cmp_ge_u32 s26, s25
	s_cselect_b32 s25, s28, s27
	s_xor_b32 s25, s25, s0
	s_sub_i32 s0, s25, s0
	s_mul_i32 s2, s0, s2
	s_sub_i32 s2, s19, s2
	s_add_i32 s2, s2, s1
	s_sub_i32 s2, s2, s24
.LBB4_10:
	s_mov_b32 s19, s2
	s_mov_b32 s2, s0
.LBB4_11:
	s_waitcnt lgkmcnt(0)
	s_mul_i32 s0, s23, s3
	s_add_i32 s18, s18, -1
	s_mul_i32 s1, s0, s13
	s_mul_i32 s24, s18, s23
	s_lshr_b32 s1, s1, 1
	s_sub_i32 s14, s14, s24
	s_cmp_lt_u32 s3, s18
	s_cselect_b32 s3, s23, s14
	s_ashr_i32 s14, s0, 31
	s_add_u32 s0, s4, s0
	s_addc_u32 s5, s5, s14
	s_add_u32 s4, s6, s1
	s_addc_u32 s7, s7, 0
	s_ashr_i32 s6, s16, 31
	s_lshl_b32 s14, s2, 7
	s_ashr_i32 s2, s22, 31
	s_lshr_b32 s6, s6, 25
	v_lshrrev_b32_e32 v27, 1, v0
	s_lshr_b32 s2, s2, 29
	s_add_i32 s6, s16, s6
	v_and_b32_e32 v1, 0x7c, v27
	s_add_i32 s22, s22, s2
	s_ashr_i32 s6, s6, 7
	s_lshl_b32 s16, s13, 7
	v_and_b32_e32 v26, 7, v0
	v_lshl_or_b32 v30, s19, 7, v1
	s_ashr_i32 s23, s22, 3
	s_mul_i32 s1, s20, s15
	v_lshlrev_b32_e32 v126, 4, v26
	v_mul_lo_u32 v127, v30, s15
	s_add_u32 s2, 0, 0
	v_add_u32_e32 v6, v127, v126
	s_addc_u32 s2, s3, s1
	s_and_b32 s1, s5, 0xffff
	s_mov_b32 s3, 0x20000
	buffer_load_dwordx4 v[2:5], v6, s[0:3], 0 offen
	v_add_u32_e32 v10, s15, v6
	buffer_load_dwordx4 v[6:9], v10, s[0:3], 0 offen
	v_lshlrev_b32_e32 v28, 1, v0
	v_and_b32_e32 v131, 6, v28
	v_and_b32_e32 v11, 0x7e, v27
	v_add_u32_e32 v16, s15, v10
	v_or_b32_e32 v14, s14, v11
	v_lshlrev_b32_e32 v15, 4, v131
	buffer_load_dwordx4 v[10:13], v16, s[0:3], 0 offen
	v_add_u32_e32 v29, s15, v16
	v_or_b32_e32 v21, 1, v131
	v_lshl_or_b32 v20, v14, 7, v15
	buffer_load_dwordx4 v[14:17], v29, s[0:3], 0 offen
	v_sub_u32_e32 v22, v21, v131
	s_mul_i32 s5, s13, s6
	v_lshlrev_b32_e32 v31, 4, v22
	v_ashrrev_i32_e32 v18, 1, v20
	s_lshl_b32 s6, s5, 6
	s_and_b32 s5, s7, 0xffff
	s_mov_b32 s7, s3
	v_add_u32_e32 v24, v20, v31
	v_sub_u32_e32 v20, v131, v21
	buffer_load_dwordx2 v[18:19], v18, s[4:7], 0 offen
	v_add_u32_e32 v22, 0x80, v24
	v_lshlrev_b32_e32 v32, 4, v20
	v_add_u32_e32 v33, v22, v32
	v_ashrrev_i32_e32 v20, 1, v33
	v_ashrrev_i32_e32 v22, 1, v22
	buffer_load_dwordx2 v[20:21], v20, s[4:7], 0 offen
	v_ashrrev_i32_e32 v24, 1, v24
	buffer_load_dwordx2 v[22:23], v22, s[4:7], 0 offen
	v_bitop3_b32 v35, v27, v26, 4 bitop3:0x6c
	buffer_load_dwordx2 v[24:25], v24, s[4:7], 0 offen
	v_lshlrev_b32_e32 v1, 7, v1
	v_and_b32_e32 v34, 4, v27
	v_lshl_or_b32 v36, v35, 4, v1
	v_lshrrev_b32_e32 v115, 2, v0
	v_lshlrev_b32_e32 v37, 1, v131
	v_bitop3_b32 v39, v37, v115, 15 bitop3:0x78
	v_lshlrev_b32_e32 v1, 8, v115
	v_bfe_u32 v38, v0, 2, 4
	v_lshl_or_b32 v142, v39, 4, v1
	s_movk_i32 s22, 0xff00
	s_mul_i32 s18, s15, -3
	v_or3_b32 v140, 0, 0, 0
	s_addk_i32 s18, 0x80
	s_add_i32 s26, s16, 0xffffff80
	v_add_u32_e32 v45, s18, v29
	v_add_u32_e32 v29, s26, v33
	v_and_b32_e32 v114, 15, v0
	v_and_b32_e32 v28, 0x60, v28
	v_lshrrev_b32_e32 v1, 3, v0
	v_and_or_b32 v40, v1, 16, v114
	v_lshrrev_b32_e32 v41, 4, v28
	v_bitop3_b32 v42, v41, v0, 7 bitop3:0x78
	v_lshlrev_b32_e32 v40, 7, v40
	v_and_b32_e32 v116, 16, v115
	v_and_b32_e32 v43, 1, v0
	v_lshrrev_b32_e32 v28, 3, v28
	v_lshl_or_b32 v117, v42, 4, v40
	v_or_b32_e32 v40, v116, v114
	v_or_b32_e32 v44, v28, v43
	v_lshrrev_b32_e32 v40, 1, v40
	v_bitop3_b32 v28, v40, v28, v43 bitop3:0x1e
	v_lshlrev_b32_e32 v43, 8, v40
	v_lshl_or_b32 v43, v28, 4, v43
	s_movk_i32 s18, 0xff80
	s_add_i32 s23, s23, -2
	v_lshrrev_b32_e32 v130, 1, v43
	v_mov_b32_e32 v113, 2
	v_mov_b32_e32 v147, 16
	v_or_b32_e32 v148, 16, v131
	v_or_b32_e32 v149, 17, v131
	v_add_u32_e32 v150, s15, v127
	s_waitcnt vmcnt(7)
	ds_write_b128 v36, v[2:5]
	v_bitop3_b32 v2, v34, v26, 1 bitop3:0x36
	v_sub_u32_e32 v3, v2, v35
	v_lshlrev_b32_e32 v118, 4, v3
	v_add_u32_e32 v136, 0x80, v118
	v_add_u32_e32 v3, v136, v36
	s_waitcnt vmcnt(6)
	ds_write_b128 v3, v[6:9]
	v_bitop3_b32 v6, v34, v26, 2 bitop3:0x36
	v_sub_u32_e32 v2, v6, v2
	v_lshlrev_b32_e32 v119, 4, v2
	v_add_u32_e32 v137, 0x80, v119
	v_add_u32_e32 v2, v137, v3
	v_bitop3_b32 v3, v34, v26, 3 bitop3:0x36
	v_sub_u32_e32 v4, v3, v6
	v_lshlrev_b32_e32 v4, 4, v4
	s_waitcnt vmcnt(5)
	ds_write_b128 v2, v[10:13]
	v_add_u32_e32 v2, v2, v4
	v_add_u32_e32 v7, v136, v137
	s_waitcnt vmcnt(4)
	ds_write_b128 v2, v[14:17] offset:128
	v_sub_u32_e32 v2, v35, v3
	v_add3_u32 v5, v7, v36, v4
	v_lshlrev_b32_e32 v2, 4, v2
	v_add3_u32 v138, v5, v2, s22
	v_lshrrev_b32_e32 v2, 1, v142
	v_bitop3_b32 v3, v37, v38, 1 bitop3:0x36
	s_waitcnt vmcnt(3)
	ds_write_b64 v2, v[18:19] offset:16384
	v_sub_u32_e32 v2, v3, v39
	v_lshlrev_b32_e32 v120, 4, v2
	v_add_u32_e32 v2, v120, v142
	v_ashrrev_i32_e32 v2, 1, v2
	v_bitop3_b32 v8, v37, v38, 3 bitop3:0x36
	s_waitcnt vmcnt(1)
	v_and_b32_e32 v4, 0xffff0000, v23
	v_and_b32_e32 v5, 0xff, v23
	;; [unrolled: 1-line block ×3, first 2 shown]
	ds_write_b64 v2, v[20:21] offset:16384
	v_sub_u32_e32 v2, v8, v39
	v_or3_b32 v4, v10, v4, v5
	v_and_b32_e32 v10, 0xff0000, v22
	v_and_b32_e32 v11, 0xff000000, v22
	v_lshl_add_u32 v9, v2, 4, v142
	v_and_b32_e32 v12, 0xff00, v22
	v_or3_b32 v5, v4, 0, 0
	v_or3_b32 v4, v140, v11, v10
	v_and_b32_e32 v10, 0xff, v22
	v_or3_b32 v4, v4, v12, v10
	v_ashrrev_i32_e32 v9, 1, v9
	ds_write_b64 v9, v[4:5] offset:16384
	v_add_u32_e32 v9, v29, v31
	v_lshrrev_b32_e32 v10, 31, v9
	v_bitop3_b32 v4, v37, v38, 2 bitop3:0x36
	v_add_u32_e32 v10, v9, v10
	v_add_u32_e32 v9, 0x80, v9
	v_sub_u32_e32 v5, v4, v39
	v_lshrrev_b32_e32 v11, 31, v9
	v_lshl_add_u32 v5, v5, 4, v142
	v_add_u32_e32 v11, v9, v11
	v_add_u32_e32 v9, v9, v32
	v_ashrrev_i32_e32 v5, 1, v5
	v_lshrrev_b32_e32 v12, 31, v9
	s_waitcnt vmcnt(0)
	ds_write_b64 v5, v[24:25] offset:16384
	v_ashrrev_i32_e32 v5, 1, v29
	v_add_u32_e32 v12, v9, v12
	v_ashrrev_i32_e32 v10, 1, v10
	v_ashrrev_i32_e32 v11, 1, v11
	;; [unrolled: 1-line block ×3, first 2 shown]
	buffer_load_dwordx2 v[102:103], v5, s[4:7], 0 offen
	buffer_load_dwordx2 v[98:99], v10, s[4:7], 0 offen
	;; [unrolled: 1-line block ×4, first 2 shown]
	v_or_b32_e32 v5, 1, v41
	v_sub_u32_e32 v5, v5, v41
	v_lshl_add_u32 v5, v5, 1, v44
	v_xor_b32_e32 v5, v5, v40
	v_sub_u32_e32 v5, v5, v28
	v_lshlrev_b32_e32 v5, 4, v5
	v_add_u32_e32 v10, v5, v43
	v_ashrrev_i32_e32 v129, 1, v10
	v_or_b32_e32 v10, 0x1000, v43
	v_lshrrev_b32_e32 v128, 1, v10
	v_add_u32_e32 v10, v5, v10
	v_ashrrev_i32_e32 v125, 1, v10
	v_or_b32_e32 v10, 0x2000, v43
	v_lshrrev_b32_e32 v124, 1, v10
	v_add_u32_e32 v10, v5, v10
	v_ashrrev_i32_e32 v123, 1, v10
	v_or_b32_e32 v10, 0x3000, v43
	v_add_u32_e32 v5, v5, v10
	v_ashrrev_i32_e32 v121, 1, v5
	v_or_b32_e32 v5, 3, v27
	v_bitop3_b32 v5, v5, 7, v0 bitop3:0x48
	v_sub_u32_e32 v3, v8, v3
	v_sub_u32_e32 v6, v5, v6
	v_lshlrev_b32_e32 v133, 4, v3
	v_sub_u32_e32 v3, v4, v8
	v_lshlrev_b32_e32 v134, 4, v6
	v_sub_u32_e32 v5, v35, v5
	v_mov_b32_e32 v6, 0xfffffe80
	v_lshlrev_b32_e32 v132, 4, v3
	v_add_u32_e32 v3, s15, v45
	v_lshl_add_u32 v135, v5, 4, v6
	v_add_u32_e32 v5, s15, v3
	v_add_u32_e32 v108, s26, v9
	v_bitop3_b32 v9, v41, v26, 1 bitop3:0x36
	v_lshrrev_b32_e32 v122, 1, v10
	v_add_u32_e32 v6, s15, v5
	buffer_load_dwordx4 v[26:29], v45, s[0:3], 0 offen
	buffer_load_dwordx4 v[22:25], v3, s[0:3], 0 offen
	;; [unrolled: 1-line block ×4, first 2 shown]
	v_add_u32_e32 v141, 0x80, v134
	v_sub_u32_e32 v3, v39, v4
	v_lshlrev_b32_e32 v143, 4, v3
	v_add3_u32 v3, v7, v141, v135
	v_sub_u32_e32 v9, v9, v42
	v_add_u32_e32 v144, v3, v3
	v_or_b32_e32 v3, 3, v30
	v_mov_b32_e32 v2, 0
	v_lshlrev_b32_e32 v9, 4, v9
	v_mul_lo_u32 v145, s15, v3
	v_or_b32_e32 v3, 2, v30
	s_mov_b32 s22, 0xff00
	v_mul_lo_u32 v146, s15, v3
	v_add_u32_e32 v139, v9, v117
	v_mov_b32_e32 v3, v2
	v_mov_b32_e32 v4, v2
	;; [unrolled: 1-line block ×63, first 2 shown]
.LBB4_12:                               ; =>This Inner Loop Header: Depth=1
	s_waitcnt lgkmcnt(0)
	s_barrier
	ds_read_b128 v[82:85], v117
	ds_read_b128 v[90:93], v117 offset:4096
	ds_read_b128 v[86:89], v139
	ds_read_b64 v[106:107], v130 offset:16384
	ds_read_b128 v[94:97], v139 offset:4096
	ds_read_b128 v[156:159], v139 offset:8192
	;; [unrolled: 1-line block ×5, first 2 shown]
	s_waitcnt lgkmcnt(5)
	;;#ASMSTART
	v_cvt_off_f32_i4 v109, v106
v_cvt_off_f32_i4 v110, v106, src0_sel:BYTE_2
v_cvt_pk_fp8_f32 v168, v109, v110
v_cvt_off_f32_i4 v109, v106, src0_sel:BYTE_1
v_cvt_off_f32_i4 v110, v106, src0_sel:BYTE_3
v_cvt_pk_fp8_f32 v169, v109, v110
v_lshrrev_b32 v111, 4, v106
v_cvt_off_f32_i4 v109, v111
v_cvt_off_f32_i4 v110, v111, src0_sel:BYTE_2
v_cvt_pk_fp8_f32 v168, v109, v110, op_sel:[0, 0, 1]
v_cvt_off_f32_i4 v109, v111, src0_sel:BYTE_1
v_cvt_off_f32_i4 v110, v111, src0_sel:BYTE_3
v_cvt_pk_fp8_f32 v169, v109, v110, op_sel:[0, 0, 1]

	;;#ASMEND
	v_add_u32_e32 v151, v126, v127
	;;#ASMSTART
	v_cvt_off_f32_i4 v106, v107
v_cvt_off_f32_i4 v109, v107, src0_sel:BYTE_2
v_cvt_pk_fp8_f32 v170, v106, v109
v_cvt_off_f32_i4 v106, v107, src0_sel:BYTE_1
v_cvt_off_f32_i4 v109, v107, src0_sel:BYTE_3
v_cvt_pk_fp8_f32 v171, v106, v109
v_lshrrev_b32 v110, 4, v107
v_cvt_off_f32_i4 v106, v110
v_cvt_off_f32_i4 v109, v110, src0_sel:BYTE_2
v_cvt_pk_fp8_f32 v170, v106, v109, op_sel:[0, 0, 1]
v_cvt_off_f32_i4 v106, v110, src0_sel:BYTE_1
v_cvt_off_f32_i4 v109, v110, src0_sel:BYTE_3
v_cvt_pk_fp8_f32 v171, v106, v109, op_sel:[0, 0, 1]

	;;#ASMEND
	ds_read_b64 v[106:107], v129 offset:16384
	s_waitcnt lgkmcnt(0)
	;;#ASMSTART
	v_cvt_off_f32_i4 v109, v106
v_cvt_off_f32_i4 v110, v106, src0_sel:BYTE_2
v_cvt_pk_fp8_f32 v172, v109, v110
v_cvt_off_f32_i4 v109, v106, src0_sel:BYTE_1
v_cvt_off_f32_i4 v110, v106, src0_sel:BYTE_3
v_cvt_pk_fp8_f32 v173, v109, v110
v_lshrrev_b32 v111, 4, v106
v_cvt_off_f32_i4 v109, v111
v_cvt_off_f32_i4 v110, v111, src0_sel:BYTE_2
v_cvt_pk_fp8_f32 v172, v109, v110, op_sel:[0, 0, 1]
v_cvt_off_f32_i4 v109, v111, src0_sel:BYTE_1
v_cvt_off_f32_i4 v110, v111, src0_sel:BYTE_3
v_cvt_pk_fp8_f32 v173, v109, v110, op_sel:[0, 0, 1]

	;;#ASMEND
	s_nop 0
	;;#ASMSTART
	v_cvt_off_f32_i4 v106, v107
v_cvt_off_f32_i4 v109, v107, src0_sel:BYTE_2
v_cvt_pk_fp8_f32 v174, v106, v109
v_cvt_off_f32_i4 v106, v107, src0_sel:BYTE_1
v_cvt_off_f32_i4 v109, v107, src0_sel:BYTE_3
v_cvt_pk_fp8_f32 v175, v106, v109
v_lshrrev_b32 v110, 4, v107
v_cvt_off_f32_i4 v106, v110
v_cvt_off_f32_i4 v109, v110, src0_sel:BYTE_2
v_cvt_pk_fp8_f32 v174, v106, v109, op_sel:[0, 0, 1]
v_cvt_off_f32_i4 v106, v110, src0_sel:BYTE_1
v_cvt_off_f32_i4 v109, v110, src0_sel:BYTE_3
v_cvt_pk_fp8_f32 v175, v106, v109, op_sel:[0, 0, 1]

	;;#ASMEND
	ds_read_b64 v[106:107], v128 offset:16384
	s_waitcnt lgkmcnt(0)
	;;#ASMSTART
	v_cvt_off_f32_i4 v109, v106
v_cvt_off_f32_i4 v110, v106, src0_sel:BYTE_2
v_cvt_pk_fp8_f32 v176, v109, v110
v_cvt_off_f32_i4 v109, v106, src0_sel:BYTE_1
v_cvt_off_f32_i4 v110, v106, src0_sel:BYTE_3
v_cvt_pk_fp8_f32 v177, v109, v110
v_lshrrev_b32 v111, 4, v106
v_cvt_off_f32_i4 v109, v111
v_cvt_off_f32_i4 v110, v111, src0_sel:BYTE_2
v_cvt_pk_fp8_f32 v176, v109, v110, op_sel:[0, 0, 1]
v_cvt_off_f32_i4 v109, v111, src0_sel:BYTE_1
v_cvt_off_f32_i4 v110, v111, src0_sel:BYTE_3
v_cvt_pk_fp8_f32 v177, v109, v110, op_sel:[0, 0, 1]

	;;#ASMEND
	s_nop 0
	;; [unrolled: 35-line block ×7, first 2 shown]
	;;#ASMSTART
	v_cvt_off_f32_i4 v106, v107
v_cvt_off_f32_i4 v109, v107, src0_sel:BYTE_2
v_cvt_pk_fp8_f32 v198, v106, v109
v_cvt_off_f32_i4 v106, v107, src0_sel:BYTE_1
v_cvt_off_f32_i4 v109, v107, src0_sel:BYTE_3
v_cvt_pk_fp8_f32 v199, v106, v109
v_lshrrev_b32 v110, 4, v107
v_cvt_off_f32_i4 v106, v110
v_cvt_off_f32_i4 v109, v110, src0_sel:BYTE_2
v_cvt_pk_fp8_f32 v198, v106, v109, op_sel:[0, 0, 1]
v_cvt_off_f32_i4 v106, v110, src0_sel:BYTE_1
v_cvt_off_f32_i4 v109, v110, src0_sel:BYTE_3
v_cvt_pk_fp8_f32 v199, v106, v109, op_sel:[0, 0, 1]

	;;#ASMEND
	; sched_barrier mask(0x00000000)
	s_barrier
	; sched_barrier mask(0x00000000)
	v_mfma_f32_16x16x128_f8f6f4 v[78:81], v[82:89], v[168:175], v[78:81]
	; sched_barrier mask(0x00000000)
	s_setprio 1
	; sched_barrier mask(0x00000000)
	v_mfma_f32_16x16x128_f8f6f4 v[74:77], v[82:89], v[176:183], v[74:77]
	v_mfma_f32_16x16x128_f8f6f4 v[70:73], v[82:89], v[184:191], v[70:73]
	;; [unrolled: 1-line block ×14, first 2 shown]
	; sched_barrier mask(0x00000000)
	s_waitcnt lgkmcnt(0)
	s_barrier
	; sched_barrier mask(0x00000000)
	v_mfma_f32_16x16x128_f8f6f4 v[2:5], v[160:167], v[192:199], v[2:5]
	; sched_barrier mask(0x00000000)
	s_setprio 0
	; sched_barrier mask(0x00000000)
	s_waitcnt vmcnt(3)
	ds_write_b128 v138, v[26:29]
	v_add_u32_e32 v26, v138, v118
	s_waitcnt vmcnt(2)
	ds_write_b128 v26, v[22:25] offset:128
	v_add_u32_e32 v22, v26, v137
	s_waitcnt vmcnt(1)
	ds_write_b128 v22, v[18:21] offset:128
	v_add_u32_e64 v26, 2, s21
	v_sub_u32_e32 v18, v149, v147
	v_sub_u32_e32 v19, v18, v131
	;; [unrolled: 1-line block ×3, first 2 shown]
	v_mul_lo_u32 v20, v20, s16
	v_lshlrev_b32_e32 v19, 4, v19
	v_add3_u32 v19, v20, v108, v19
	v_lshrrev_b32_e32 v20, 31, v19
	v_add_u32_e32 v200, v22, v141
	v_add_u32_e32 v20, v19, v20
	v_add_u32_e32 v19, 0x80, v19
	v_sub_u32_e32 v18, v131, v18
	s_waitcnt vmcnt(0)
	ds_write_b128 v200, v[10:13] offset:128
	v_lshrrev_b32_e32 v11, 31, v108
	v_lshl_add_u32 v27, v18, 4, v19
	v_add_u32_e32 v11, v108, v11
	v_lshrrev_b32_e32 v21, 31, v19
	v_lshrrev_b32_e32 v18, 31, v27
	v_add_u32_e32 v13, v126, v146
	v_ashrrev_i32_e32 v11, 1, v11
	v_add_u32_e32 v21, v19, v21
	v_add_u32_e32 v18, v27, v18
	;; [unrolled: 1-line block ×3, first 2 shown]
	buffer_load_dwordx4 v[94:97], v151, s[0:3], 0 offen offset:256
	buffer_load_dwordx4 v[86:89], v12, s[0:3], 0 offen offset:256
	v_add_u32_e32 v201, v126, v145
	buffer_load_dwordx4 v[90:93], v13, s[0:3], 0 offen offset:256
	buffer_load_dwordx4 v[82:85], v201, s[0:3], 0 offen offset:256
	v_ashrrev_i32_e32 v20, 1, v20
	v_ashrrev_i32_e32 v21, 1, v21
	v_ashrrev_i32_e32 v18, 1, v18
	buffer_load_dwordx2 v[110:111], v11, s[4:7], 0 offen
	buffer_load_dwordx2 v[106:107], v20, s[4:7], 0 offen
	buffer_load_dwordx2 v[112:113], v21, s[4:7], 0 offen
	buffer_load_dwordx2 v[108:109], v18, s[4:7], 0 offen
	v_lshrrev_b32_e32 v10, 31, v142
	v_add_u32_e32 v10, v142, v10
	v_ashrrev_i32_e32 v10, 1, v10
	ds_write_b64 v10, v[102:103] offset:16384
	v_add_u32_e32 v10, v142, v120
	v_lshrrev_b32_e32 v11, 31, v10
	v_add_u32_e32 v11, v10, v11
	v_ashrrev_i32_e32 v11, 1, v11
	v_add_u32_e32 v10, v10, v133
	ds_write_b64 v11, v[104:105] offset:16384
	v_lshrrev_b32_e32 v11, 31, v10
	v_add_u32_e32 v28, v10, v132
	v_add_u32_e32 v11, v10, v11
	v_lshrrev_b32_e32 v10, 31, v28
	v_add_u32_e32 v10, v28, v10
	v_ashrrev_i32_e32 v11, 1, v11
	v_ashrrev_i32_e32 v10, 1, v10
	ds_write_b64 v11, v[100:101] offset:16384
	ds_write_b64 v10, v[98:99] offset:16384
	s_waitcnt lgkmcnt(0)
	s_barrier
	ds_read_b128 v[18:21], v117
	ds_read_b128 v[98:101], v117 offset:4096
	ds_read_b128 v[22:25], v139
	ds_read_b64 v[10:11], v130 offset:16384
	ds_read_b128 v[102:105], v139 offset:4096
	ds_read_b128 v[156:159], v139 offset:8192
	;; [unrolled: 1-line block ×5, first 2 shown]
	s_waitcnt lgkmcnt(5)
	;;#ASMSTART
	v_cvt_off_f32_i4 v29, v10
v_cvt_off_f32_i4 v142, v10, src0_sel:BYTE_2
v_cvt_pk_fp8_f32 v168, v29, v142
v_cvt_off_f32_i4 v29, v10, src0_sel:BYTE_1
v_cvt_off_f32_i4 v142, v10, src0_sel:BYTE_3
v_cvt_pk_fp8_f32 v169, v29, v142
v_lshrrev_b32 v170, 4, v10
v_cvt_off_f32_i4 v29, v170
v_cvt_off_f32_i4 v142, v170, src0_sel:BYTE_2
v_cvt_pk_fp8_f32 v168, v29, v142, op_sel:[0, 0, 1]
v_cvt_off_f32_i4 v29, v170, src0_sel:BYTE_1
v_cvt_off_f32_i4 v142, v170, src0_sel:BYTE_3
v_cvt_pk_fp8_f32 v169, v29, v142, op_sel:[0, 0, 1]

	;;#ASMEND
	v_add_u32_e32 v202, v28, v143
	;;#ASMSTART
	v_cvt_off_f32_i4 v10, v11
v_cvt_off_f32_i4 v29, v11, src0_sel:BYTE_2
v_cvt_pk_fp8_f32 v170, v10, v29
v_cvt_off_f32_i4 v10, v11, src0_sel:BYTE_1
v_cvt_off_f32_i4 v29, v11, src0_sel:BYTE_3
v_cvt_pk_fp8_f32 v171, v10, v29
v_lshrrev_b32 v142, 4, v11
v_cvt_off_f32_i4 v10, v142
v_cvt_off_f32_i4 v29, v142, src0_sel:BYTE_2
v_cvt_pk_fp8_f32 v170, v10, v29, op_sel:[0, 0, 1]
v_cvt_off_f32_i4 v10, v142, src0_sel:BYTE_1
v_cvt_off_f32_i4 v29, v142, src0_sel:BYTE_3
v_cvt_pk_fp8_f32 v171, v10, v29, op_sel:[0, 0, 1]

	;;#ASMEND
	ds_read_b64 v[10:11], v129 offset:16384
	s_waitcnt lgkmcnt(0)
	;;#ASMSTART
	v_cvt_off_f32_i4 v29, v10
v_cvt_off_f32_i4 v142, v10, src0_sel:BYTE_2
v_cvt_pk_fp8_f32 v172, v29, v142
v_cvt_off_f32_i4 v29, v10, src0_sel:BYTE_1
v_cvt_off_f32_i4 v142, v10, src0_sel:BYTE_3
v_cvt_pk_fp8_f32 v173, v29, v142
v_lshrrev_b32 v174, 4, v10
v_cvt_off_f32_i4 v29, v174
v_cvt_off_f32_i4 v142, v174, src0_sel:BYTE_2
v_cvt_pk_fp8_f32 v172, v29, v142, op_sel:[0, 0, 1]
v_cvt_off_f32_i4 v29, v174, src0_sel:BYTE_1
v_cvt_off_f32_i4 v142, v174, src0_sel:BYTE_3
v_cvt_pk_fp8_f32 v173, v29, v142, op_sel:[0, 0, 1]

	;;#ASMEND
	v_add_u32_e64 v203, 3, s21
	;;#ASMSTART
	v_cvt_off_f32_i4 v10, v11
v_cvt_off_f32_i4 v29, v11, src0_sel:BYTE_2
v_cvt_pk_fp8_f32 v174, v10, v29
v_cvt_off_f32_i4 v10, v11, src0_sel:BYTE_1
v_cvt_off_f32_i4 v29, v11, src0_sel:BYTE_3
v_cvt_pk_fp8_f32 v175, v10, v29
v_lshrrev_b32 v142, 4, v11
v_cvt_off_f32_i4 v10, v142
v_cvt_off_f32_i4 v29, v142, src0_sel:BYTE_2
v_cvt_pk_fp8_f32 v174, v10, v29, op_sel:[0, 0, 1]
v_cvt_off_f32_i4 v10, v142, src0_sel:BYTE_1
v_cvt_off_f32_i4 v29, v142, src0_sel:BYTE_3
v_cvt_pk_fp8_f32 v175, v10, v29, op_sel:[0, 0, 1]

	;;#ASMEND
	ds_read_b64 v[10:11], v128 offset:16384
	s_waitcnt lgkmcnt(0)
	;;#ASMSTART
	v_cvt_off_f32_i4 v29, v10
v_cvt_off_f32_i4 v142, v10, src0_sel:BYTE_2
v_cvt_pk_fp8_f32 v176, v29, v142
v_cvt_off_f32_i4 v29, v10, src0_sel:BYTE_1
v_cvt_off_f32_i4 v142, v10, src0_sel:BYTE_3
v_cvt_pk_fp8_f32 v177, v29, v142
v_lshrrev_b32 v178, 4, v10
v_cvt_off_f32_i4 v29, v178
v_cvt_off_f32_i4 v142, v178, src0_sel:BYTE_2
v_cvt_pk_fp8_f32 v176, v29, v142, op_sel:[0, 0, 1]
v_cvt_off_f32_i4 v29, v178, src0_sel:BYTE_1
v_cvt_off_f32_i4 v142, v178, src0_sel:BYTE_3
v_cvt_pk_fp8_f32 v177, v29, v142, op_sel:[0, 0, 1]

	;;#ASMEND
	v_sub_u32_e32 v26, v203, v26
	;;#ASMSTART
	v_cvt_off_f32_i4 v10, v11
v_cvt_off_f32_i4 v29, v11, src0_sel:BYTE_2
v_cvt_pk_fp8_f32 v178, v10, v29
v_cvt_off_f32_i4 v10, v11, src0_sel:BYTE_1
v_cvt_off_f32_i4 v29, v11, src0_sel:BYTE_3
v_cvt_pk_fp8_f32 v179, v10, v29
v_lshrrev_b32 v142, 4, v11
v_cvt_off_f32_i4 v10, v142
v_cvt_off_f32_i4 v29, v142, src0_sel:BYTE_2
v_cvt_pk_fp8_f32 v178, v10, v29, op_sel:[0, 0, 1]
v_cvt_off_f32_i4 v10, v142, src0_sel:BYTE_1
v_cvt_off_f32_i4 v29, v142, src0_sel:BYTE_3
v_cvt_pk_fp8_f32 v179, v10, v29, op_sel:[0, 0, 1]

	;;#ASMEND
	ds_read_b64 v[10:11], v125 offset:16384
	s_waitcnt lgkmcnt(0)
	;;#ASMSTART
	v_cvt_off_f32_i4 v29, v10
v_cvt_off_f32_i4 v142, v10, src0_sel:BYTE_2
v_cvt_pk_fp8_f32 v180, v29, v142
v_cvt_off_f32_i4 v29, v10, src0_sel:BYTE_1
v_cvt_off_f32_i4 v142, v10, src0_sel:BYTE_3
v_cvt_pk_fp8_f32 v181, v29, v142
v_lshrrev_b32 v182, 4, v10
v_cvt_off_f32_i4 v29, v182
v_cvt_off_f32_i4 v142, v182, src0_sel:BYTE_2
v_cvt_pk_fp8_f32 v180, v29, v142, op_sel:[0, 0, 1]
v_cvt_off_f32_i4 v29, v182, src0_sel:BYTE_1
v_cvt_off_f32_i4 v142, v182, src0_sel:BYTE_3
v_cvt_pk_fp8_f32 v181, v29, v142, op_sel:[0, 0, 1]

	;;#ASMEND
	v_mul_lo_u32 v26, v26, s16
	;;#ASMSTART
	v_cvt_off_f32_i4 v10, v11
v_cvt_off_f32_i4 v29, v11, src0_sel:BYTE_2
v_cvt_pk_fp8_f32 v182, v10, v29
v_cvt_off_f32_i4 v10, v11, src0_sel:BYTE_1
v_cvt_off_f32_i4 v29, v11, src0_sel:BYTE_3
v_cvt_pk_fp8_f32 v183, v10, v29
v_lshrrev_b32 v142, 4, v11
v_cvt_off_f32_i4 v10, v142
v_cvt_off_f32_i4 v29, v142, src0_sel:BYTE_2
v_cvt_pk_fp8_f32 v182, v10, v29, op_sel:[0, 0, 1]
v_cvt_off_f32_i4 v10, v142, src0_sel:BYTE_1
v_cvt_off_f32_i4 v29, v142, src0_sel:BYTE_3
v_cvt_pk_fp8_f32 v183, v10, v29, op_sel:[0, 0, 1]

	;;#ASMEND
	ds_read_b64 v[10:11], v124 offset:16384
	s_waitcnt lgkmcnt(0)
	;;#ASMSTART
	v_cvt_off_f32_i4 v29, v10
v_cvt_off_f32_i4 v142, v10, src0_sel:BYTE_2
v_cvt_pk_fp8_f32 v184, v29, v142
v_cvt_off_f32_i4 v29, v10, src0_sel:BYTE_1
v_cvt_off_f32_i4 v142, v10, src0_sel:BYTE_3
v_cvt_pk_fp8_f32 v185, v29, v142
v_lshrrev_b32 v186, 4, v10
v_cvt_off_f32_i4 v29, v186
v_cvt_off_f32_i4 v142, v186, src0_sel:BYTE_2
v_cvt_pk_fp8_f32 v184, v29, v142, op_sel:[0, 0, 1]
v_cvt_off_f32_i4 v29, v186, src0_sel:BYTE_1
v_cvt_off_f32_i4 v142, v186, src0_sel:BYTE_3
v_cvt_pk_fp8_f32 v185, v29, v142, op_sel:[0, 0, 1]

	;;#ASMEND
	s_nop 0
	;;#ASMSTART
	v_cvt_off_f32_i4 v10, v11
v_cvt_off_f32_i4 v29, v11, src0_sel:BYTE_2
v_cvt_pk_fp8_f32 v186, v10, v29
v_cvt_off_f32_i4 v10, v11, src0_sel:BYTE_1
v_cvt_off_f32_i4 v29, v11, src0_sel:BYTE_3
v_cvt_pk_fp8_f32 v187, v10, v29
v_lshrrev_b32 v142, 4, v11
v_cvt_off_f32_i4 v10, v142
v_cvt_off_f32_i4 v29, v142, src0_sel:BYTE_2
v_cvt_pk_fp8_f32 v186, v10, v29, op_sel:[0, 0, 1]
v_cvt_off_f32_i4 v10, v142, src0_sel:BYTE_1
v_cvt_off_f32_i4 v29, v142, src0_sel:BYTE_3
v_cvt_pk_fp8_f32 v187, v10, v29, op_sel:[0, 0, 1]

	;;#ASMEND
	ds_read_b64 v[10:11], v123 offset:16384
	s_waitcnt lgkmcnt(0)
	;;#ASMSTART
	v_cvt_off_f32_i4 v29, v10
v_cvt_off_f32_i4 v142, v10, src0_sel:BYTE_2
v_cvt_pk_fp8_f32 v188, v29, v142
v_cvt_off_f32_i4 v29, v10, src0_sel:BYTE_1
v_cvt_off_f32_i4 v142, v10, src0_sel:BYTE_3
v_cvt_pk_fp8_f32 v189, v29, v142
v_lshrrev_b32 v190, 4, v10
v_cvt_off_f32_i4 v29, v190
v_cvt_off_f32_i4 v142, v190, src0_sel:BYTE_2
v_cvt_pk_fp8_f32 v188, v29, v142, op_sel:[0, 0, 1]
v_cvt_off_f32_i4 v29, v190, src0_sel:BYTE_1
v_cvt_off_f32_i4 v142, v190, src0_sel:BYTE_3
v_cvt_pk_fp8_f32 v189, v29, v142, op_sel:[0, 0, 1]

	;;#ASMEND
	s_nop 0
	;; [unrolled: 35-line block ×3, first 2 shown]
	;;#ASMSTART
	v_cvt_off_f32_i4 v10, v11
v_cvt_off_f32_i4 v28, v11, src0_sel:BYTE_2
v_cvt_pk_fp8_f32 v194, v10, v28
v_cvt_off_f32_i4 v10, v11, src0_sel:BYTE_1
v_cvt_off_f32_i4 v28, v11, src0_sel:BYTE_3
v_cvt_pk_fp8_f32 v195, v10, v28
v_lshrrev_b32 v29, 4, v11
v_cvt_off_f32_i4 v10, v29
v_cvt_off_f32_i4 v28, v29, src0_sel:BYTE_2
v_cvt_pk_fp8_f32 v194, v10, v28, op_sel:[0, 0, 1]
v_cvt_off_f32_i4 v10, v29, src0_sel:BYTE_1
v_cvt_off_f32_i4 v28, v29, src0_sel:BYTE_3
v_cvt_pk_fp8_f32 v195, v10, v28, op_sel:[0, 0, 1]

	;;#ASMEND
	ds_read_b64 v[10:11], v121 offset:16384
	v_add3_u32 v142, v26, v27, s18
	s_waitcnt lgkmcnt(0)
	;;#ASMSTART
	v_cvt_off_f32_i4 v26, v10
v_cvt_off_f32_i4 v27, v10, src0_sel:BYTE_2
v_cvt_pk_fp8_f32 v196, v26, v27
v_cvt_off_f32_i4 v26, v10, src0_sel:BYTE_1
v_cvt_off_f32_i4 v27, v10, src0_sel:BYTE_3
v_cvt_pk_fp8_f32 v197, v26, v27
v_lshrrev_b32 v28, 4, v10
v_cvt_off_f32_i4 v26, v28
v_cvt_off_f32_i4 v27, v28, src0_sel:BYTE_2
v_cvt_pk_fp8_f32 v196, v26, v27, op_sel:[0, 0, 1]
v_cvt_off_f32_i4 v26, v28, src0_sel:BYTE_1
v_cvt_off_f32_i4 v27, v28, src0_sel:BYTE_3
v_cvt_pk_fp8_f32 v197, v26, v27, op_sel:[0, 0, 1]

	;;#ASMEND
	s_nop 0
	;;#ASMSTART
	v_cvt_off_f32_i4 v10, v11
v_cvt_off_f32_i4 v26, v11, src0_sel:BYTE_2
v_cvt_pk_fp8_f32 v198, v10, v26
v_cvt_off_f32_i4 v10, v11, src0_sel:BYTE_1
v_cvt_off_f32_i4 v26, v11, src0_sel:BYTE_3
v_cvt_pk_fp8_f32 v199, v10, v26
v_lshrrev_b32 v27, 4, v11
v_cvt_off_f32_i4 v10, v27
v_cvt_off_f32_i4 v26, v27, src0_sel:BYTE_2
v_cvt_pk_fp8_f32 v198, v10, v26, op_sel:[0, 0, 1]
v_cvt_off_f32_i4 v10, v27, src0_sel:BYTE_1
v_cvt_off_f32_i4 v26, v27, src0_sel:BYTE_3
v_cvt_pk_fp8_f32 v199, v10, v26, op_sel:[0, 0, 1]

	;;#ASMEND
	; sched_barrier mask(0x00000000)
	s_barrier
	; sched_barrier mask(0x00000000)
	v_mfma_f32_16x16x128_f8f6f4 v[78:81], v[18:25], v[168:175], v[78:81]
	; sched_barrier mask(0x00000000)
	s_setprio 1
	; sched_barrier mask(0x00000000)
	v_mfma_f32_16x16x128_f8f6f4 v[74:77], v[18:25], v[176:183], v[74:77]
	v_mfma_f32_16x16x128_f8f6f4 v[70:73], v[18:25], v[184:191], v[70:73]
	;; [unrolled: 1-line block ×14, first 2 shown]
	; sched_barrier mask(0x00000000)
	s_waitcnt lgkmcnt(0)
	s_barrier
	; sched_barrier mask(0x00000000)
	v_mfma_f32_16x16x128_f8f6f4 v[2:5], v[160:167], v[192:199], v[2:5]
	; sched_barrier mask(0x00000000)
	s_setprio 0
	; sched_barrier mask(0x00000000)
	v_lshrrev_b32_e32 v98, 31, v142
	v_sub_u32_e32 v100, v203, v203
	v_add_u32_e32 v101, v142, v98
	v_mad_u64_u32 v[98:99], s[24:25], v100, s16, v[142:143]
	v_mul_lo_u32 v99, v100, s16
	v_ashrrev_i32_e32 v100, 1, v101
	v_add_u32_e32 v101, 16, v98
	v_add_u32_e32 v98, 0x90, v98
	buffer_load_dwordx4 v[26:29], v151, s[0:3], 0 offen offset:384
	buffer_load_dwordx4 v[22:25], v12, s[0:3], 0 offen offset:384
	;; [unrolled: 1-line block ×3, first 2 shown]
	s_nop 0
	buffer_load_dwordx4 v[10:13], v201, s[0:3], 0 offen offset:384
	buffer_load_dwordx2 v[102:103], v100, s[4:7], 0 offen
	v_lshrrev_b32_e32 v100, 31, v101
	v_lshrrev_b32_e32 v104, 31, v98
	v_add3_u32 v151, v99, v98, -16
	v_add_u32_e32 v99, v101, v100
	v_add_u32_e32 v98, v98, v104
	v_lshrrev_b32_e32 v100, 31, v151
	v_ashrrev_i32_e32 v101, 1, v98
	v_add_u32_e32 v98, v151, v100
	v_ashrrev_i32_e32 v99, 1, v99
	v_ashrrev_i32_e32 v104, 1, v98
	buffer_load_dwordx2 v[98:99], v99, s[4:7], 0 offen
	s_nop 0
	buffer_load_dwordx2 v[100:101], v101, s[4:7], 0 offen
	s_nop 0
	buffer_load_dwordx2 v[104:105], v104, s[4:7], 0 offen
	v_add_u32_e32 v142, v200, v135
	v_add_u32_e32 v153, v202, v120
	v_lshrrev_b32_e32 v152, 31, v202
	s_waitcnt vmcnt(9)
	v_and_b32_e32 v154, 0xffff0000, v113
	v_and_b32_e32 v155, 0xff, v113
	;; [unrolled: 1-line block ×5, first 2 shown]
	ds_write_b128 v142, v[94:97] offset:128
	v_add_u32_e32 v94, v142, v118
	v_add3_u32 v95, v142, v136, v137
	v_lshrrev_b32_e32 v97, 31, v153
	v_add_u32_e32 v142, v153, v133
	v_add_u32_e64 v158, 4, s21
	v_add_u32_e32 v96, v202, v152
	v_or3_b32 v152, v113, v154, v155
	v_or3_b32 v154, v140, v157, v156
	ds_write_b128 v94, v[86:89] offset:256
	ds_write_b128 v95, v[90:93] offset:128
	v_add_u32_e32 v86, v95, v141
	v_add_u32_e32 v88, v153, v97
	v_lshrrev_b32_e32 v91, 31, v142
	v_add_u32_e32 v92, v142, v132
	v_sub_u32_e32 v155, v158, v203
	v_ashrrev_i32_e32 v87, 1, v96
	v_and_or_b32 v90, v112, s22, v154
	ds_write_b128 v86, v[82:85] offset:128
	ds_write_b64 v87, v[110:111] offset:16384
	v_ashrrev_i32_e32 v82, 1, v88
	v_add_u32_e32 v83, v142, v91
	v_lshrrev_b32_e32 v84, 31, v92
	v_add_u32_e32 v148, 16, v148
	s_add_i32 s21, s21, 2
	v_or3_b32 v89, v152, 0, 0
	v_mul_lo_u32 v93, v155, s16
	v_or_b32_sdwa v88, v90, v112 dst_sel:DWORD dst_unused:UNUSED_PAD src0_sel:DWORD src1_sel:BYTE_0
	s_waitcnt vmcnt(8)
	ds_write_b64 v82, v[108:109] offset:16384
	v_ashrrev_i32_e32 v82, 1, v83
	v_add_u32_e32 v83, v92, v84
	v_add_u32_e32 v138, v138, v144
	;; [unrolled: 1-line block ×8, first 2 shown]
	v_lshrrev_b32_e32 v113, 3, v148
	s_cmp_lt_i32 s21, s23
	v_add_u32_e32 v142, v92, v143
	v_add3_u32 v108, v93, v151, s18
	ds_write_b64 v82, v[88:89] offset:16384
	v_ashrrev_i32_e32 v82, 1, v83
	ds_write_b64 v82, v[106:107] offset:16384
	s_cbranch_scc1 .LBB4_12
; %bb.13:
	s_waitcnt lgkmcnt(0)
	s_barrier
	ds_read_b128 v[88:91], v117
	ds_read_b128 v[106:109], v117 offset:4096
	ds_read_b128 v[92:95], v139
	ds_read_b64 v[82:83], v130 offset:16384
	ds_read_b128 v[110:113], v139 offset:4096
	ds_read_b128 v[148:151], v139 offset:8192
	;; [unrolled: 1-line block ×5, first 2 shown]
	s_waitcnt lgkmcnt(5)
	;;#ASMSTART
	v_cvt_off_f32_i4 v84, v82
v_cvt_off_f32_i4 v85, v82, src0_sel:BYTE_2
v_cvt_pk_fp8_f32 v160, v84, v85
v_cvt_off_f32_i4 v84, v82, src0_sel:BYTE_1
v_cvt_off_f32_i4 v85, v82, src0_sel:BYTE_3
v_cvt_pk_fp8_f32 v161, v84, v85
v_lshrrev_b32 v87, 4, v82
v_cvt_off_f32_i4 v84, v87
v_cvt_off_f32_i4 v85, v87, src0_sel:BYTE_2
v_cvt_pk_fp8_f32 v160, v84, v85, op_sel:[0, 0, 1]
v_cvt_off_f32_i4 v84, v87, src0_sel:BYTE_1
v_cvt_off_f32_i4 v85, v87, src0_sel:BYTE_3
v_cvt_pk_fp8_f32 v161, v84, v85, op_sel:[0, 0, 1]

	;;#ASMEND
	s_lshl_b64 s[0:1], s[10:11], 1
	;;#ASMSTART
	v_cvt_off_f32_i4 v82, v83
v_cvt_off_f32_i4 v84, v83, src0_sel:BYTE_2
v_cvt_pk_fp8_f32 v162, v82, v84
v_cvt_off_f32_i4 v82, v83, src0_sel:BYTE_1
v_cvt_off_f32_i4 v84, v83, src0_sel:BYTE_3
v_cvt_pk_fp8_f32 v163, v82, v84
v_lshrrev_b32 v85, 4, v83
v_cvt_off_f32_i4 v82, v85
v_cvt_off_f32_i4 v84, v85, src0_sel:BYTE_2
v_cvt_pk_fp8_f32 v162, v82, v84, op_sel:[0, 0, 1]
v_cvt_off_f32_i4 v82, v85, src0_sel:BYTE_1
v_cvt_off_f32_i4 v84, v85, src0_sel:BYTE_3
v_cvt_pk_fp8_f32 v163, v82, v84, op_sel:[0, 0, 1]

	;;#ASMEND
	ds_read_b64 v[82:83], v129 offset:16384
	s_waitcnt lgkmcnt(0)
	;;#ASMSTART
	v_cvt_off_f32_i4 v84, v82
v_cvt_off_f32_i4 v85, v82, src0_sel:BYTE_2
v_cvt_pk_fp8_f32 v164, v84, v85
v_cvt_off_f32_i4 v84, v82, src0_sel:BYTE_1
v_cvt_off_f32_i4 v85, v82, src0_sel:BYTE_3
v_cvt_pk_fp8_f32 v165, v84, v85
v_lshrrev_b32 v87, 4, v82
v_cvt_off_f32_i4 v84, v87
v_cvt_off_f32_i4 v85, v87, src0_sel:BYTE_2
v_cvt_pk_fp8_f32 v164, v84, v85, op_sel:[0, 0, 1]
v_cvt_off_f32_i4 v84, v87, src0_sel:BYTE_1
v_cvt_off_f32_i4 v85, v87, src0_sel:BYTE_3
v_cvt_pk_fp8_f32 v165, v84, v85, op_sel:[0, 0, 1]

	;;#ASMEND
	s_mul_i32 s2, s20, s17
	;;#ASMSTART
	v_cvt_off_f32_i4 v82, v83
v_cvt_off_f32_i4 v84, v83, src0_sel:BYTE_2
v_cvt_pk_fp8_f32 v166, v82, v84
v_cvt_off_f32_i4 v82, v83, src0_sel:BYTE_1
v_cvt_off_f32_i4 v84, v83, src0_sel:BYTE_3
v_cvt_pk_fp8_f32 v167, v82, v84
v_lshrrev_b32 v85, 4, v83
v_cvt_off_f32_i4 v82, v85
v_cvt_off_f32_i4 v84, v85, src0_sel:BYTE_2
v_cvt_pk_fp8_f32 v166, v82, v84, op_sel:[0, 0, 1]
v_cvt_off_f32_i4 v82, v85, src0_sel:BYTE_1
v_cvt_off_f32_i4 v84, v85, src0_sel:BYTE_3
v_cvt_pk_fp8_f32 v167, v82, v84, op_sel:[0, 0, 1]

	;;#ASMEND
	ds_read_b64 v[82:83], v128 offset:16384
	s_waitcnt lgkmcnt(0)
	;;#ASMSTART
	v_cvt_off_f32_i4 v84, v82
v_cvt_off_f32_i4 v85, v82, src0_sel:BYTE_2
v_cvt_pk_fp8_f32 v168, v84, v85
v_cvt_off_f32_i4 v84, v82, src0_sel:BYTE_1
v_cvt_off_f32_i4 v85, v82, src0_sel:BYTE_3
v_cvt_pk_fp8_f32 v169, v84, v85
v_lshrrev_b32 v87, 4, v82
v_cvt_off_f32_i4 v84, v87
v_cvt_off_f32_i4 v85, v87, src0_sel:BYTE_2
v_cvt_pk_fp8_f32 v168, v84, v85, op_sel:[0, 0, 1]
v_cvt_off_f32_i4 v84, v87, src0_sel:BYTE_1
v_cvt_off_f32_i4 v85, v87, src0_sel:BYTE_3
v_cvt_pk_fp8_f32 v169, v84, v85, op_sel:[0, 0, 1]

	;;#ASMEND
	s_mul_hi_u32 s3, 0, s17
	;;#ASMSTART
	v_cvt_off_f32_i4 v82, v83
v_cvt_off_f32_i4 v84, v83, src0_sel:BYTE_2
v_cvt_pk_fp8_f32 v170, v82, v84
v_cvt_off_f32_i4 v82, v83, src0_sel:BYTE_1
v_cvt_off_f32_i4 v84, v83, src0_sel:BYTE_3
v_cvt_pk_fp8_f32 v171, v82, v84
v_lshrrev_b32 v85, 4, v83
v_cvt_off_f32_i4 v82, v85
v_cvt_off_f32_i4 v84, v85, src0_sel:BYTE_2
v_cvt_pk_fp8_f32 v170, v82, v84, op_sel:[0, 0, 1]
v_cvt_off_f32_i4 v82, v85, src0_sel:BYTE_1
v_cvt_off_f32_i4 v84, v85, src0_sel:BYTE_3
v_cvt_pk_fp8_f32 v171, v82, v84, op_sel:[0, 0, 1]

	;;#ASMEND
	ds_read_b64 v[82:83], v125 offset:16384
	s_waitcnt lgkmcnt(0)
	;;#ASMSTART
	v_cvt_off_f32_i4 v84, v82
v_cvt_off_f32_i4 v85, v82, src0_sel:BYTE_2
v_cvt_pk_fp8_f32 v172, v84, v85
v_cvt_off_f32_i4 v84, v82, src0_sel:BYTE_1
v_cvt_off_f32_i4 v85, v82, src0_sel:BYTE_3
v_cvt_pk_fp8_f32 v173, v84, v85
v_lshrrev_b32 v87, 4, v82
v_cvt_off_f32_i4 v84, v87
v_cvt_off_f32_i4 v85, v87, src0_sel:BYTE_2
v_cvt_pk_fp8_f32 v172, v84, v85, op_sel:[0, 0, 1]
v_cvt_off_f32_i4 v84, v87, src0_sel:BYTE_1
v_cvt_off_f32_i4 v85, v87, src0_sel:BYTE_3
v_cvt_pk_fp8_f32 v173, v84, v85, op_sel:[0, 0, 1]

	;;#ASMEND
	s_add_u32 s20, s8, s0
	;;#ASMSTART
	v_cvt_off_f32_i4 v82, v83
v_cvt_off_f32_i4 v84, v83, src0_sel:BYTE_2
v_cvt_pk_fp8_f32 v174, v82, v84
v_cvt_off_f32_i4 v82, v83, src0_sel:BYTE_1
v_cvt_off_f32_i4 v84, v83, src0_sel:BYTE_3
v_cvt_pk_fp8_f32 v175, v82, v84
v_lshrrev_b32 v85, 4, v83
v_cvt_off_f32_i4 v82, v85
v_cvt_off_f32_i4 v84, v85, src0_sel:BYTE_2
v_cvt_pk_fp8_f32 v174, v82, v84, op_sel:[0, 0, 1]
v_cvt_off_f32_i4 v82, v85, src0_sel:BYTE_1
v_cvt_off_f32_i4 v84, v85, src0_sel:BYTE_3
v_cvt_pk_fp8_f32 v175, v82, v84, op_sel:[0, 0, 1]

	;;#ASMEND
	ds_read_b64 v[82:83], v124 offset:16384
	s_waitcnt lgkmcnt(0)
	;;#ASMSTART
	v_cvt_off_f32_i4 v84, v82
v_cvt_off_f32_i4 v85, v82, src0_sel:BYTE_2
v_cvt_pk_fp8_f32 v176, v84, v85
v_cvt_off_f32_i4 v84, v82, src0_sel:BYTE_1
v_cvt_off_f32_i4 v85, v82, src0_sel:BYTE_3
v_cvt_pk_fp8_f32 v177, v84, v85
v_lshrrev_b32 v87, 4, v82
v_cvt_off_f32_i4 v84, v87
v_cvt_off_f32_i4 v85, v87, src0_sel:BYTE_2
v_cvt_pk_fp8_f32 v176, v84, v85, op_sel:[0, 0, 1]
v_cvt_off_f32_i4 v84, v87, src0_sel:BYTE_1
v_cvt_off_f32_i4 v85, v87, src0_sel:BYTE_3
v_cvt_pk_fp8_f32 v177, v84, v85, op_sel:[0, 0, 1]

	;;#ASMEND
	s_addc_u32 s0, s9, s1
	;;#ASMSTART
	v_cvt_off_f32_i4 v82, v83
v_cvt_off_f32_i4 v84, v83, src0_sel:BYTE_2
v_cvt_pk_fp8_f32 v178, v82, v84
v_cvt_off_f32_i4 v82, v83, src0_sel:BYTE_1
v_cvt_off_f32_i4 v84, v83, src0_sel:BYTE_3
v_cvt_pk_fp8_f32 v179, v82, v84
v_lshrrev_b32 v85, 4, v83
v_cvt_off_f32_i4 v82, v85
v_cvt_off_f32_i4 v84, v85, src0_sel:BYTE_2
v_cvt_pk_fp8_f32 v178, v82, v84, op_sel:[0, 0, 1]
v_cvt_off_f32_i4 v82, v85, src0_sel:BYTE_1
v_cvt_off_f32_i4 v84, v85, src0_sel:BYTE_3
v_cvt_pk_fp8_f32 v179, v82, v84, op_sel:[0, 0, 1]

	;;#ASMEND
	ds_read_b64 v[82:83], v123 offset:16384
	s_waitcnt lgkmcnt(0)
	;;#ASMSTART
	v_cvt_off_f32_i4 v84, v82
v_cvt_off_f32_i4 v85, v82, src0_sel:BYTE_2
v_cvt_pk_fp8_f32 v180, v84, v85
v_cvt_off_f32_i4 v84, v82, src0_sel:BYTE_1
v_cvt_off_f32_i4 v85, v82, src0_sel:BYTE_3
v_cvt_pk_fp8_f32 v181, v84, v85
v_lshrrev_b32 v87, 4, v82
v_cvt_off_f32_i4 v84, v87
v_cvt_off_f32_i4 v85, v87, src0_sel:BYTE_2
v_cvt_pk_fp8_f32 v180, v84, v85, op_sel:[0, 0, 1]
v_cvt_off_f32_i4 v84, v87, src0_sel:BYTE_1
v_cvt_off_f32_i4 v85, v87, src0_sel:BYTE_3
v_cvt_pk_fp8_f32 v181, v84, v85, op_sel:[0, 0, 1]

	;;#ASMEND
	s_add_i32 s1, s3, s2
	;;#ASMSTART
	v_cvt_off_f32_i4 v82, v83
v_cvt_off_f32_i4 v84, v83, src0_sel:BYTE_2
v_cvt_pk_fp8_f32 v182, v82, v84
v_cvt_off_f32_i4 v82, v83, src0_sel:BYTE_1
v_cvt_off_f32_i4 v84, v83, src0_sel:BYTE_3
v_cvt_pk_fp8_f32 v183, v82, v84
v_lshrrev_b32 v85, 4, v83
v_cvt_off_f32_i4 v82, v85
v_cvt_off_f32_i4 v84, v85, src0_sel:BYTE_2
v_cvt_pk_fp8_f32 v182, v82, v84, op_sel:[0, 0, 1]
v_cvt_off_f32_i4 v82, v85, src0_sel:BYTE_1
v_cvt_off_f32_i4 v84, v85, src0_sel:BYTE_3
v_cvt_pk_fp8_f32 v183, v82, v84, op_sel:[0, 0, 1]

	;;#ASMEND
	ds_read_b64 v[82:83], v122 offset:16384
	s_waitcnt lgkmcnt(0)
	;;#ASMSTART
	v_cvt_off_f32_i4 v84, v82
v_cvt_off_f32_i4 v85, v82, src0_sel:BYTE_2
v_cvt_pk_fp8_f32 v184, v84, v85
v_cvt_off_f32_i4 v84, v82, src0_sel:BYTE_1
v_cvt_off_f32_i4 v85, v82, src0_sel:BYTE_3
v_cvt_pk_fp8_f32 v185, v84, v85
v_lshrrev_b32 v87, 4, v82
v_cvt_off_f32_i4 v84, v87
v_cvt_off_f32_i4 v85, v87, src0_sel:BYTE_2
v_cvt_pk_fp8_f32 v184, v84, v85, op_sel:[0, 0, 1]
v_cvt_off_f32_i4 v84, v87, src0_sel:BYTE_1
v_cvt_off_f32_i4 v85, v87, src0_sel:BYTE_3
v_cvt_pk_fp8_f32 v185, v84, v85, op_sel:[0, 0, 1]

	;;#ASMEND
	s_nop 0
	;;#ASMSTART
	v_cvt_off_f32_i4 v82, v83
v_cvt_off_f32_i4 v84, v83, src0_sel:BYTE_2
v_cvt_pk_fp8_f32 v186, v82, v84
v_cvt_off_f32_i4 v82, v83, src0_sel:BYTE_1
v_cvt_off_f32_i4 v84, v83, src0_sel:BYTE_3
v_cvt_pk_fp8_f32 v187, v82, v84
v_lshrrev_b32 v85, 4, v83
v_cvt_off_f32_i4 v82, v85
v_cvt_off_f32_i4 v84, v85, src0_sel:BYTE_2
v_cvt_pk_fp8_f32 v186, v82, v84, op_sel:[0, 0, 1]
v_cvt_off_f32_i4 v82, v85, src0_sel:BYTE_1
v_cvt_off_f32_i4 v84, v85, src0_sel:BYTE_3
v_cvt_pk_fp8_f32 v187, v82, v84, op_sel:[0, 0, 1]

	;;#ASMEND
	ds_read_b64 v[82:83], v121 offset:16384
	s_waitcnt lgkmcnt(0)
	;;#ASMSTART
	v_cvt_off_f32_i4 v84, v82
v_cvt_off_f32_i4 v85, v82, src0_sel:BYTE_2
v_cvt_pk_fp8_f32 v188, v84, v85
v_cvt_off_f32_i4 v84, v82, src0_sel:BYTE_1
v_cvt_off_f32_i4 v85, v82, src0_sel:BYTE_3
v_cvt_pk_fp8_f32 v189, v84, v85
v_lshrrev_b32 v87, 4, v82
v_cvt_off_f32_i4 v84, v87
v_cvt_off_f32_i4 v85, v87, src0_sel:BYTE_2
v_cvt_pk_fp8_f32 v188, v84, v85, op_sel:[0, 0, 1]
v_cvt_off_f32_i4 v84, v87, src0_sel:BYTE_1
v_cvt_off_f32_i4 v85, v87, src0_sel:BYTE_3
v_cvt_pk_fp8_f32 v189, v84, v85, op_sel:[0, 0, 1]

	;;#ASMEND
	s_nop 0
	;;#ASMSTART
	v_cvt_off_f32_i4 v82, v83
v_cvt_off_f32_i4 v84, v83, src0_sel:BYTE_2
v_cvt_pk_fp8_f32 v190, v82, v84
v_cvt_off_f32_i4 v82, v83, src0_sel:BYTE_1
v_cvt_off_f32_i4 v84, v83, src0_sel:BYTE_3
v_cvt_pk_fp8_f32 v191, v82, v84
v_lshrrev_b32 v85, 4, v83
v_cvt_off_f32_i4 v82, v85
v_cvt_off_f32_i4 v84, v85, src0_sel:BYTE_2
v_cvt_pk_fp8_f32 v190, v82, v84, op_sel:[0, 0, 1]
v_cvt_off_f32_i4 v82, v85, src0_sel:BYTE_1
v_cvt_off_f32_i4 v84, v85, src0_sel:BYTE_3
v_cvt_pk_fp8_f32 v191, v82, v84, op_sel:[0, 0, 1]

	;;#ASMEND
	; sched_barrier mask(0x00000000)
	s_barrier
	; sched_barrier mask(0x00000000)
	v_mfma_f32_16x16x128_f8f6f4 v[78:81], v[88:95], v[160:167], v[78:81]
	; sched_barrier mask(0x00000000)
	s_setprio 1
	; sched_barrier mask(0x00000000)
	v_mfma_f32_16x16x128_f8f6f4 v[82:85], v[88:95], v[168:175], v[74:77]
	v_mfma_f32_16x16x128_f8f6f4 v[192:195], v[88:95], v[176:183], v[70:73]
	v_mfma_f32_16x16x128_f8f6f4 v[88:91], v[88:95], v[184:191], v[66:69]
	v_mfma_f32_16x16x128_f8f6f4 v[92:95], v[106:113], v[160:167], v[62:65]
	v_mfma_f32_16x16x128_f8f6f4 v[196:199], v[106:113], v[168:175], v[58:61]
	v_mfma_f32_16x16x128_f8f6f4 v[200:203], v[106:113], v[176:183], v[54:57]
	v_mfma_f32_16x16x128_f8f6f4 v[106:109], v[106:113], v[184:191], v[50:53]
	v_mfma_f32_16x16x128_f8f6f4 v[110:113], v[144:151], v[160:167], v[46:49]
	v_mfma_f32_16x16x128_f8f6f4 v[204:207], v[144:151], v[168:175], v[42:45]
	v_mfma_f32_16x16x128_f8f6f4 v[208:211], v[144:151], v[176:183], v[38:41]
	v_mfma_f32_16x16x128_f8f6f4 v[144:147], v[144:151], v[184:191], v[34:37]
	v_mfma_f32_16x16x128_f8f6f4 v[148:151], v[152:159], v[160:167], v[30:33]
	v_mfma_f32_16x16x128_f8f6f4 v[160:163], v[152:159], v[168:175], v[14:17]
	v_mfma_f32_16x16x128_f8f6f4 v[164:167], v[152:159], v[176:183], v[6:9]
	; sched_barrier mask(0x00000000)
	s_waitcnt lgkmcnt(0)
	s_barrier
	; sched_barrier mask(0x00000000)
	v_mfma_f32_16x16x128_f8f6f4 v[152:155], v[152:159], v[184:191], v[2:5]
	; sched_barrier mask(0x00000000)
	s_setprio 0
	; sched_barrier mask(0x00000000)
	s_nop 5
	v_add_u32_e32 v2, v86, v135
	s_waitcnt vmcnt(7)
	ds_write_b128 v2, v[26:29] offset:128
	v_add_u32_e32 v2, v2, v118
	s_waitcnt vmcnt(6)
	ds_write_b128 v2, v[22:25] offset:256
	;; [unrolled: 3-line block ×4, first 2 shown]
	v_lshrrev_b32_e32 v2, 31, v142
	v_add_u32_e32 v2, v142, v2
	v_ashrrev_i32_e32 v2, 1, v2
	s_waitcnt vmcnt(3)
	ds_write_b64 v2, v[102:103] offset:16384
	v_add_u32_e32 v2, v142, v120
	v_lshrrev_b32_e32 v3, 31, v2
	v_add_u32_e32 v3, v2, v3
	v_ashrrev_i32_e32 v3, 1, v3
	v_add_u32_e32 v2, v2, v133
	s_waitcnt vmcnt(0)
	ds_write_b64 v3, v[104:105] offset:16384
	v_lshrrev_b32_e32 v3, 31, v2
	v_add_u32_e32 v3, v2, v3
	v_ashrrev_i32_e32 v3, 1, v3
	v_add_u32_e32 v2, v2, v132
	ds_write_b64 v3, v[100:101] offset:16384
	v_lshrrev_b32_e32 v3, 31, v2
	v_add_u32_e32 v2, v2, v3
	v_ashrrev_i32_e32 v2, 1, v2
	ds_write_b64 v2, v[98:99] offset:16384
	s_waitcnt lgkmcnt(0)
	s_barrier
	ds_read_b128 v[2:5], v117
	ds_read_b128 v[10:13], v117 offset:4096
	ds_read_b128 v[6:9], v139
	ds_read_b64 v[18:19], v130 offset:16384
	ds_read_b128 v[14:17], v139 offset:4096
	ds_read_b128 v[34:37], v139 offset:8192
	;; [unrolled: 1-line block ×5, first 2 shown]
	s_waitcnt lgkmcnt(5)
	;;#ASMSTART
	v_cvt_off_f32_i4 v20, v18
v_cvt_off_f32_i4 v21, v18, src0_sel:BYTE_2
v_cvt_pk_fp8_f32 v46, v20, v21
v_cvt_off_f32_i4 v20, v18, src0_sel:BYTE_1
v_cvt_off_f32_i4 v21, v18, src0_sel:BYTE_3
v_cvt_pk_fp8_f32 v47, v20, v21
v_lshrrev_b32 v22, 4, v18
v_cvt_off_f32_i4 v20, v22
v_cvt_off_f32_i4 v21, v22, src0_sel:BYTE_2
v_cvt_pk_fp8_f32 v46, v20, v21, op_sel:[0, 0, 1]
v_cvt_off_f32_i4 v20, v22, src0_sel:BYTE_1
v_cvt_off_f32_i4 v21, v22, src0_sel:BYTE_3
v_cvt_pk_fp8_f32 v47, v20, v21, op_sel:[0, 0, 1]

	;;#ASMEND
	s_nop 0
	;;#ASMSTART
	v_cvt_off_f32_i4 v18, v19
v_cvt_off_f32_i4 v20, v19, src0_sel:BYTE_2
v_cvt_pk_fp8_f32 v48, v18, v20
v_cvt_off_f32_i4 v18, v19, src0_sel:BYTE_1
v_cvt_off_f32_i4 v20, v19, src0_sel:BYTE_3
v_cvt_pk_fp8_f32 v49, v18, v20
v_lshrrev_b32 v21, 4, v19
v_cvt_off_f32_i4 v18, v21
v_cvt_off_f32_i4 v20, v21, src0_sel:BYTE_2
v_cvt_pk_fp8_f32 v48, v18, v20, op_sel:[0, 0, 1]
v_cvt_off_f32_i4 v18, v21, src0_sel:BYTE_1
v_cvt_off_f32_i4 v20, v21, src0_sel:BYTE_3
v_cvt_pk_fp8_f32 v49, v18, v20, op_sel:[0, 0, 1]

	;;#ASMEND
	ds_read_b64 v[18:19], v129 offset:16384
	s_waitcnt lgkmcnt(0)
	;;#ASMSTART
	v_cvt_off_f32_i4 v20, v18
v_cvt_off_f32_i4 v21, v18, src0_sel:BYTE_2
v_cvt_pk_fp8_f32 v50, v20, v21
v_cvt_off_f32_i4 v20, v18, src0_sel:BYTE_1
v_cvt_off_f32_i4 v21, v18, src0_sel:BYTE_3
v_cvt_pk_fp8_f32 v51, v20, v21
v_lshrrev_b32 v22, 4, v18
v_cvt_off_f32_i4 v20, v22
v_cvt_off_f32_i4 v21, v22, src0_sel:BYTE_2
v_cvt_pk_fp8_f32 v50, v20, v21, op_sel:[0, 0, 1]
v_cvt_off_f32_i4 v20, v22, src0_sel:BYTE_1
v_cvt_off_f32_i4 v21, v22, src0_sel:BYTE_3
v_cvt_pk_fp8_f32 v51, v20, v21, op_sel:[0, 0, 1]

	;;#ASMEND
	s_nop 0
	;;#ASMSTART
	v_cvt_off_f32_i4 v18, v19
v_cvt_off_f32_i4 v20, v19, src0_sel:BYTE_2
v_cvt_pk_fp8_f32 v52, v18, v20
v_cvt_off_f32_i4 v18, v19, src0_sel:BYTE_1
v_cvt_off_f32_i4 v20, v19, src0_sel:BYTE_3
v_cvt_pk_fp8_f32 v53, v18, v20
v_lshrrev_b32 v21, 4, v19
v_cvt_off_f32_i4 v18, v21
v_cvt_off_f32_i4 v20, v21, src0_sel:BYTE_2
v_cvt_pk_fp8_f32 v52, v18, v20, op_sel:[0, 0, 1]
v_cvt_off_f32_i4 v18, v21, src0_sel:BYTE_1
v_cvt_off_f32_i4 v20, v21, src0_sel:BYTE_3
v_cvt_pk_fp8_f32 v53, v18, v20, op_sel:[0, 0, 1]

	;;#ASMEND
	ds_read_b64 v[18:19], v128 offset:16384
	;; [unrolled: 35-line block ×7, first 2 shown]
	s_waitcnt lgkmcnt(0)
	;;#ASMSTART
	v_cvt_off_f32_i4 v20, v18
v_cvt_off_f32_i4 v21, v18, src0_sel:BYTE_2
v_cvt_pk_fp8_f32 v74, v20, v21
v_cvt_off_f32_i4 v20, v18, src0_sel:BYTE_1
v_cvt_off_f32_i4 v21, v18, src0_sel:BYTE_3
v_cvt_pk_fp8_f32 v75, v20, v21
v_lshrrev_b32 v22, 4, v18
v_cvt_off_f32_i4 v20, v22
v_cvt_off_f32_i4 v21, v22, src0_sel:BYTE_2
v_cvt_pk_fp8_f32 v74, v20, v21, op_sel:[0, 0, 1]
v_cvt_off_f32_i4 v20, v22, src0_sel:BYTE_1
v_cvt_off_f32_i4 v21, v22, src0_sel:BYTE_3
v_cvt_pk_fp8_f32 v75, v20, v21, op_sel:[0, 0, 1]

	;;#ASMEND
	s_nop 0
	;;#ASMSTART
	v_cvt_off_f32_i4 v18, v19
v_cvt_off_f32_i4 v20, v19, src0_sel:BYTE_2
v_cvt_pk_fp8_f32 v76, v18, v20
v_cvt_off_f32_i4 v18, v19, src0_sel:BYTE_1
v_cvt_off_f32_i4 v20, v19, src0_sel:BYTE_3
v_cvt_pk_fp8_f32 v77, v18, v20
v_lshrrev_b32 v21, 4, v19
v_cvt_off_f32_i4 v18, v21
v_cvt_off_f32_i4 v20, v21, src0_sel:BYTE_2
v_cvt_pk_fp8_f32 v76, v18, v20, op_sel:[0, 0, 1]
v_cvt_off_f32_i4 v18, v21, src0_sel:BYTE_1
v_cvt_off_f32_i4 v20, v21, src0_sel:BYTE_3
v_cvt_pk_fp8_f32 v77, v18, v20, op_sel:[0, 0, 1]

	;;#ASMEND
	; sched_barrier mask(0x00000000)
	s_barrier
	; sched_barrier mask(0x00000000)
	v_mfma_f32_16x16x128_f8f6f4 v[78:81], v[2:9], v[46:53], v[78:81]
	; sched_barrier mask(0x00000000)
	s_setprio 1
	; sched_barrier mask(0x00000000)
	v_mfma_f32_16x16x128_f8f6f4 v[82:85], v[2:9], v[54:61], v[82:85]
	v_mfma_f32_16x16x128_f8f6f4 v[96:99], v[2:9], v[62:69], v[192:195]
	;; [unrolled: 1-line block ×14, first 2 shown]
	; sched_barrier mask(0x00000000)
	s_waitcnt lgkmcnt(0)
	s_barrier
	; sched_barrier mask(0x00000000)
	v_mfma_f32_16x16x128_f8f6f4 v[14:17], v[38:45], v[70:77], v[152:155]
	; sched_barrier mask(0x00000000)
	s_setprio 0
	; sched_barrier mask(0x00000000)
	v_lshlrev_b32_e32 v0, 2, v0
	v_and_b32_e32 v30, 12, v115
	v_and_b32_e32 v33, 28, v0
	v_and_or_b32 v32, v1, 16, v30
	v_or_b32_e32 v0, s14, v33
	v_lshl_or_b32 v34, s19, 7, v1
	v_mad_u64_u32 v[30:31], s[2:3], v34, s17, v[0:1]
	v_lshlrev_b32_e32 v32, 6, v32
	v_cvt_f16_f32_e32 v31, v78
	v_lshl_or_b32 v32, v116, 1, v32
	v_lshl_add_u32 v35, v114, 1, v32
	v_cvt_f16_f32_e32 v32, v79
	v_cvt_f16_f32_e32 v36, v80
	;; [unrolled: 1-line block ×3, first 2 shown]
	s_waitcnt lgkmcnt(0)
	s_barrier
	ds_write_b16 v35, v31
	ds_write_b16 v35, v32 offset:64
	ds_write_b16 v35, v36 offset:128
	;; [unrolled: 1-line block ×3, first 2 shown]
	v_lshlrev_b32_e32 v31, 1, v33
	v_lshl_or_b32 v31, v1, 6, v31
	s_waitcnt lgkmcnt(0)
	s_barrier
	ds_read_b64 v[32:33], v31
	v_cmp_gt_i32_e32 vcc, s13, v0
	v_cmp_gt_i32_e64 s[6:7], s12, v34
	s_add_i32 s1, s13, s1
	s_lshl_b32 s22, s1, 1
	s_and_b32 s21, s0, 0xffff
	v_bfrev_b32_e32 v36, 1
	s_and_b64 s[0:1], s[6:7], vcc
	v_lshlrev_b32_e32 v1, 1, v30
	v_cndmask_b32_e64 v37, v36, 0, s[0:1]
	s_mov_b32 s23, 0x20000
	v_add_u32_e32 v37, v37, v1
	s_waitcnt lgkmcnt(0)
	buffer_store_dwordx2 v[32:33], v37, s[20:23], 0 offen
	v_cvt_f16_f32_e32 v32, v82
	v_cvt_f16_f32_e32 v33, v83
	;; [unrolled: 1-line block ×4, first 2 shown]
	v_or_b32_e32 v37, 32, v0
	s_waitcnt lgkmcnt(0)
	s_barrier
	ds_write_b16 v35, v32
	ds_write_b16 v35, v33 offset:64
	ds_write_b16 v35, v38 offset:128
	;; [unrolled: 1-line block ×3, first 2 shown]
	s_waitcnt lgkmcnt(0)
	s_barrier
	ds_read_b64 v[32:33], v31
	v_cmp_gt_i32_e64 s[0:1], s13, v37
	s_and_b64 s[2:3], s[6:7], s[0:1]
	v_cndmask_b32_e64 v37, v36, 0, s[2:3]
	v_add_u32_e32 v37, v1, v37
	s_waitcnt lgkmcnt(0)
	buffer_store_dwordx2 v[32:33], v37, s[20:23], 0 offen offset:64
	v_cvt_f16_f32_e32 v32, v96
	v_cvt_f16_f32_e32 v33, v97
	;; [unrolled: 1-line block ×4, first 2 shown]
	v_or_b32_e32 v37, 64, v0
	s_waitcnt lgkmcnt(0)
	s_barrier
	ds_write_b16 v35, v32
	ds_write_b16 v35, v33 offset:64
	ds_write_b16 v35, v38 offset:128
	ds_write_b16 v35, v39 offset:192
	s_waitcnt lgkmcnt(0)
	s_barrier
	ds_read_b64 v[32:33], v31
	v_cmp_gt_i32_e64 s[2:3], s13, v37
	s_and_b64 s[4:5], s[6:7], s[2:3]
	v_cndmask_b32_e64 v37, v36, 0, s[4:5]
	v_add_u32_e32 v1, v1, v37
	s_waitcnt lgkmcnt(0)
	buffer_store_dwordx2 v[32:33], v1, s[20:23], 0 offen offset:128
	v_or_b32_e32 v32, 0x60, v0
	v_cvt_f16_f32_e32 v0, v86
	v_cvt_f16_f32_e32 v1, v87
	;; [unrolled: 1-line block ×4, first 2 shown]
	s_waitcnt lgkmcnt(0)
	s_barrier
	ds_write_b16 v35, v0
	ds_write_b16 v35, v1 offset:64
	ds_write_b16 v35, v37 offset:128
	;; [unrolled: 1-line block ×3, first 2 shown]
	s_waitcnt lgkmcnt(0)
	s_barrier
	ds_read_b64 v[0:1], v31
	v_cmp_gt_i32_e64 s[4:5], s13, v32
	s_and_b64 s[6:7], s[6:7], s[4:5]
	v_add_u32_e32 v33, 0x60, v30
	v_cndmask_b32_e64 v32, v36, 0, s[6:7]
	v_lshl_add_u32 v32, v33, 1, v32
	s_waitcnt lgkmcnt(0)
	buffer_store_dwordx2 v[0:1], v32, s[20:23], 0 offen
	v_cvt_f16_f32_e32 v0, v104
	v_cvt_f16_f32_e32 v1, v105
	;; [unrolled: 1-line block ×4, first 2 shown]
	v_or_b32_e32 v32, 32, v34
	s_waitcnt lgkmcnt(0)
	s_barrier
	ds_write_b16 v35, v0
	ds_write_b16 v35, v1 offset:64
	ds_write_b16 v35, v37 offset:128
	ds_write_b16 v35, v38 offset:192
	s_waitcnt lgkmcnt(0)
	s_barrier
	ds_read_b64 v[0:1], v31
	v_cmp_gt_i32_e64 s[6:7], s12, v32
	s_lshl_b32 s10, s17, 5
	s_and_b64 s[8:9], s[6:7], s[4:5]
	v_add_lshl_u32 v32, v33, s10, 1
	v_cndmask_b32_e64 v33, v36, 0, s[8:9]
	v_add_u32_e32 v33, v32, v33
	s_waitcnt lgkmcnt(0)
	buffer_store_dwordx2 v[0:1], v33, s[20:23], 0 offen
	v_cvt_f16_f32_e32 v0, v118
	v_cvt_f16_f32_e32 v1, v119
	;; [unrolled: 1-line block ×4, first 2 shown]
	s_waitcnt lgkmcnt(0)
	s_barrier
	ds_write_b16 v35, v0
	ds_write_b16 v35, v1 offset:64
	ds_write_b16 v35, v33 offset:128
	;; [unrolled: 1-line block ×3, first 2 shown]
	s_waitcnt lgkmcnt(0)
	s_barrier
	ds_read_b64 v[0:1], v31
	v_mov_b32_e32 v33, 0x7fffffc0
	v_not_b32_e32 v37, 63
	s_and_b64 s[8:9], s[6:7], s[2:3]
	v_cndmask_b32_e64 v38, v33, v37, s[8:9]
	v_add_u32_e32 v38, v32, v38
	s_waitcnt lgkmcnt(0)
	buffer_store_dwordx2 v[0:1], v38, s[20:23], 0 offen
	v_cvt_f16_f32_e32 v0, v100
	v_cvt_f16_f32_e32 v1, v101
	v_cvt_f16_f32_e32 v38, v102
	v_cvt_f16_f32_e32 v39, v103
	s_waitcnt lgkmcnt(0)
	s_barrier
	ds_write_b16 v35, v0
	ds_write_b16 v35, v1 offset:64
	ds_write_b16 v35, v38 offset:128
	;; [unrolled: 1-line block ×3, first 2 shown]
	s_waitcnt lgkmcnt(0)
	s_barrier
	ds_read_b64 v[0:1], v31
	v_mov_b32_e32 v38, 0x7fffff80
	v_mov_b32_e32 v39, 0xffffff80
	s_and_b64 s[8:9], s[6:7], s[0:1]
	v_cndmask_b32_e64 v40, v38, v39, s[8:9]
	v_add_u32_e32 v32, v32, v40
	s_waitcnt lgkmcnt(0)
	buffer_store_dwordx2 v[0:1], v32, s[20:23], 0 offen
	v_cvt_f16_f32_e32 v0, v90
	v_cvt_f16_f32_e32 v1, v91
	;; [unrolled: 1-line block ×4, first 2 shown]
	s_waitcnt lgkmcnt(0)
	s_barrier
	ds_write_b16 v35, v0
	ds_write_b16 v35, v1 offset:64
	ds_write_b16 v35, v32 offset:128
	;; [unrolled: 1-line block ×3, first 2 shown]
	s_waitcnt lgkmcnt(0)
	s_barrier
	ds_read_b64 v[0:1], v31
	s_and_b64 s[6:7], vcc, s[6:7]
	v_add_u32_e32 v30, s10, v30
	v_cndmask_b32_e64 v32, v36, 0, s[6:7]
	v_lshl_add_u32 v32, v30, 1, v32
	s_waitcnt lgkmcnt(0)
	buffer_store_dwordx2 v[0:1], v32, s[20:23], 0 offen
	v_cvt_f16_f32_e32 v0, v108
	v_cvt_f16_f32_e32 v1, v109
	;; [unrolled: 1-line block ×4, first 2 shown]
	v_or_b32_e32 v32, 64, v34
	s_waitcnt lgkmcnt(0)
	s_barrier
	ds_write_b16 v35, v0
	ds_write_b16 v35, v1 offset:64
	ds_write_b16 v35, v40 offset:128
	;; [unrolled: 1-line block ×3, first 2 shown]
	s_waitcnt lgkmcnt(0)
	s_barrier
	ds_read_b64 v[0:1], v31
	v_cmp_gt_i32_e64 s[6:7], s12, v32
	v_add_u32_e32 v30, s10, v30
	s_and_b64 s[8:9], vcc, s[6:7]
	v_lshlrev_b32_e32 v32, 1, v30
	v_cndmask_b32_e64 v40, v36, 0, s[8:9]
	v_add_u32_e32 v40, v32, v40
	s_waitcnt lgkmcnt(0)
	buffer_store_dwordx2 v[0:1], v40, s[20:23], 0 offen
	v_cvt_f16_f32_e32 v0, v26
	v_cvt_f16_f32_e32 v1, v27
	;; [unrolled: 1-line block ×4, first 2 shown]
	s_waitcnt lgkmcnt(0)
	s_barrier
	ds_write_b16 v35, v0
	ds_write_b16 v35, v1 offset:64
	ds_write_b16 v35, v26 offset:128
	;; [unrolled: 1-line block ×3, first 2 shown]
	s_waitcnt lgkmcnt(0)
	s_barrier
	ds_read_b64 v[0:1], v31
	v_mov_b32_e32 v26, 0x80000040
	s_and_b64 s[8:9], s[6:7], s[0:1]
	v_cndmask_b32_e64 v26, v26, 64, s[8:9]
	v_add_u32_e32 v26, v32, v26
	s_waitcnt lgkmcnt(0)
	buffer_store_dwordx2 v[0:1], v26, s[20:23], 0 offen
	v_cvt_f16_f32_e32 v0, v22
	v_cvt_f16_f32_e32 v1, v23
	;; [unrolled: 1-line block ×4, first 2 shown]
	s_waitcnt lgkmcnt(0)
	s_barrier
	ds_write_b16 v35, v0
	ds_write_b16 v35, v1 offset:64
	ds_write_b16 v35, v22 offset:128
	;; [unrolled: 1-line block ×3, first 2 shown]
	s_waitcnt lgkmcnt(0)
	s_barrier
	ds_read_b64 v[0:1], v31
	v_mov_b32_e32 v22, 0x80000080
	v_mov_b32_e32 v23, 0x80
	s_and_b64 s[8:9], s[6:7], s[2:3]
	v_cndmask_b32_e64 v22, v22, v23, s[8:9]
	v_add_u32_e32 v22, v32, v22
	s_waitcnt lgkmcnt(0)
	buffer_store_dwordx2 v[0:1], v22, s[20:23], 0 offen
	v_cvt_f16_f32_e32 v0, v18
	v_cvt_f16_f32_e32 v1, v19
	;; [unrolled: 1-line block ×4, first 2 shown]
	s_waitcnt lgkmcnt(0)
	s_barrier
	ds_write_b16 v35, v0
	ds_write_b16 v35, v1 offset:64
	ds_write_b16 v35, v18 offset:128
	;; [unrolled: 1-line block ×3, first 2 shown]
	s_waitcnt lgkmcnt(0)
	s_barrier
	ds_read_b64 v[0:1], v31
	s_and_b64 s[6:7], s[6:7], s[4:5]
	v_add_u32_e32 v18, 0x60, v30
	v_cndmask_b32_e64 v19, v36, 0, s[6:7]
	v_lshl_add_u32 v19, v18, 1, v19
	s_waitcnt lgkmcnt(0)
	buffer_store_dwordx2 v[0:1], v19, s[20:23], 0 offen
	v_cvt_f16_f32_e32 v0, v14
	v_cvt_f16_f32_e32 v1, v15
	v_cvt_f16_f32_e32 v14, v16
	v_cvt_f16_f32_e32 v15, v17
	v_or_b32_e32 v19, 0x60, v34
	s_waitcnt lgkmcnt(0)
	s_barrier
	ds_write_b16 v35, v0
	ds_write_b16 v35, v1 offset:64
	ds_write_b16 v35, v14 offset:128
	;; [unrolled: 1-line block ×3, first 2 shown]
	s_waitcnt lgkmcnt(0)
	s_barrier
	ds_read_b64 v[0:1], v31
	v_cmp_gt_i32_e64 s[6:7], s12, v19
	s_and_b64 s[4:5], s[6:7], s[4:5]
	v_add_lshl_u32 v14, v18, s10, 1
	v_cndmask_b32_e64 v15, v36, 0, s[4:5]
	v_add_u32_e32 v15, v14, v15
	s_waitcnt lgkmcnt(0)
	buffer_store_dwordx2 v[0:1], v15, s[20:23], 0 offen
	v_cvt_f16_f32_e32 v0, v10
	v_cvt_f16_f32_e32 v1, v11
	;; [unrolled: 1-line block ×4, first 2 shown]
	s_waitcnt lgkmcnt(0)
	s_barrier
	ds_write_b16 v35, v0
	ds_write_b16 v35, v1 offset:64
	ds_write_b16 v35, v10 offset:128
	;; [unrolled: 1-line block ×3, first 2 shown]
	s_waitcnt lgkmcnt(0)
	s_barrier
	ds_read_b64 v[0:1], v31
	s_and_b64 s[2:3], s[6:7], s[2:3]
	v_cndmask_b32_e64 v10, v33, v37, s[2:3]
	v_add_u32_e32 v10, v14, v10
	s_and_b64 s[0:1], s[6:7], s[0:1]
	s_waitcnt lgkmcnt(0)
	buffer_store_dwordx2 v[0:1], v10, s[20:23], 0 offen
	v_cvt_f16_f32_e32 v0, v6
	v_cvt_f16_f32_e32 v1, v7
	;; [unrolled: 1-line block ×4, first 2 shown]
	s_waitcnt lgkmcnt(0)
	s_barrier
	ds_write_b16 v35, v0
	ds_write_b16 v35, v1 offset:64
	ds_write_b16 v35, v6 offset:128
	;; [unrolled: 1-line block ×3, first 2 shown]
	s_waitcnt lgkmcnt(0)
	s_barrier
	ds_read_b64 v[0:1], v31
	v_cndmask_b32_e64 v6, v38, v39, s[0:1]
	v_add_u32_e32 v6, v14, v6
	s_and_b64 s[0:1], vcc, s[6:7]
	s_waitcnt lgkmcnt(0)
	buffer_store_dwordx2 v[0:1], v6, s[20:23], 0 offen
	v_cvt_f16_f32_e32 v0, v2
	v_cvt_f16_f32_e32 v1, v3
	v_cvt_f16_f32_e32 v2, v4
	v_cvt_f16_f32_e32 v3, v5
	s_waitcnt lgkmcnt(0)
	s_barrier
	ds_write_b16 v35, v0
	ds_write_b16 v35, v1 offset:64
	ds_write_b16 v35, v2 offset:128
	ds_write_b16 v35, v3 offset:192
	s_waitcnt lgkmcnt(0)
	s_barrier
	ds_read_b64 v[0:1], v31
	v_add_u32_e32 v2, s10, v30
	v_cndmask_b32_e64 v3, v36, 0, s[0:1]
	v_lshl_add_u32 v2, v2, 1, v3
	s_waitcnt lgkmcnt(0)
	buffer_store_dwordx2 v[0:1], v2, s[20:23], 0 offen
	s_endpgm
	.section	.rodata,"a",@progbits
	.p2align	6, 0x0
	.amdhsa_kernel _ZN2ck27kernel_gemm_xdl_cshuffle_v3INS_28GridwiseGemm_xdl_cshuffle_v3INS_13tensor_layout4gemm8RowMajorENS3_11ColumnMajorES4_NS_9f8_fnuz_tENS_7pk_i4_tEfDF16_DF16_NS_16tensor_operation12element_wise11PassThroughESA_SA_LNS8_6device18GemmSpecializationE0ELi256ELi128ELi128ELi128ELi16ELi16ELi16ELi16ELi4ELi4ENS_8SequenceIJLi8ELi32ELi1EEEENSD_IJLi1ELi0ELi2EEEESF_Li2ELi16ELi16ELb0ELi0ENSD_IJLi4ELi64ELi1EEEESF_SF_Li2ELi16ELi16ELb0ELi0ELi1ELi1ENSD_IJLi1ELi32ELi1ELi8EEEELi4ELNS_26BlockGemmPipelineSchedulerE1ELNS_24BlockGemmPipelineVersionE1ES6_S6_Lb0ELb1ELb0ELi0ELb0EEELb1ELNS_25InMemoryDataOperationEnumE0ELi2ELNS_10TailNumberE10EEEvNT_8ArgumentE
		.amdhsa_group_segment_fixed_size 24576
		.amdhsa_private_segment_fixed_size 0
		.amdhsa_kernarg_size 112
		.amdhsa_user_sgpr_count 2
		.amdhsa_user_sgpr_dispatch_ptr 0
		.amdhsa_user_sgpr_queue_ptr 0
		.amdhsa_user_sgpr_kernarg_segment_ptr 1
		.amdhsa_user_sgpr_dispatch_id 0
		.amdhsa_user_sgpr_kernarg_preload_length 0
		.amdhsa_user_sgpr_kernarg_preload_offset 0
		.amdhsa_user_sgpr_private_segment_size 0
		.amdhsa_uses_dynamic_stack 0
		.amdhsa_enable_private_segment 0
		.amdhsa_system_sgpr_workgroup_id_x 1
		.amdhsa_system_sgpr_workgroup_id_y 0
		.amdhsa_system_sgpr_workgroup_id_z 1
		.amdhsa_system_sgpr_workgroup_info 0
		.amdhsa_system_vgpr_workitem_id 0
		.amdhsa_next_free_vgpr 212
		.amdhsa_next_free_sgpr 91
		.amdhsa_accum_offset 212
		.amdhsa_reserve_vcc 1
		.amdhsa_float_round_mode_32 0
		.amdhsa_float_round_mode_16_64 0
		.amdhsa_float_denorm_mode_32 3
		.amdhsa_float_denorm_mode_16_64 3
		.amdhsa_dx10_clamp 1
		.amdhsa_ieee_mode 1
		.amdhsa_fp16_overflow 0
		.amdhsa_tg_split 0
		.amdhsa_exception_fp_ieee_invalid_op 0
		.amdhsa_exception_fp_denorm_src 0
		.amdhsa_exception_fp_ieee_div_zero 0
		.amdhsa_exception_fp_ieee_overflow 0
		.amdhsa_exception_fp_ieee_underflow 0
		.amdhsa_exception_fp_ieee_inexact 0
		.amdhsa_exception_int_div_zero 0
	.end_amdhsa_kernel
	.section	.text._ZN2ck27kernel_gemm_xdl_cshuffle_v3INS_28GridwiseGemm_xdl_cshuffle_v3INS_13tensor_layout4gemm8RowMajorENS3_11ColumnMajorES4_NS_9f8_fnuz_tENS_7pk_i4_tEfDF16_DF16_NS_16tensor_operation12element_wise11PassThroughESA_SA_LNS8_6device18GemmSpecializationE0ELi256ELi128ELi128ELi128ELi16ELi16ELi16ELi16ELi4ELi4ENS_8SequenceIJLi8ELi32ELi1EEEENSD_IJLi1ELi0ELi2EEEESF_Li2ELi16ELi16ELb0ELi0ENSD_IJLi4ELi64ELi1EEEESF_SF_Li2ELi16ELi16ELb0ELi0ELi1ELi1ENSD_IJLi1ELi32ELi1ELi8EEEELi4ELNS_26BlockGemmPipelineSchedulerE1ELNS_24BlockGemmPipelineVersionE1ES6_S6_Lb0ELb1ELb0ELi0ELb0EEELb1ELNS_25InMemoryDataOperationEnumE0ELi2ELNS_10TailNumberE10EEEvNT_8ArgumentE,"axG",@progbits,_ZN2ck27kernel_gemm_xdl_cshuffle_v3INS_28GridwiseGemm_xdl_cshuffle_v3INS_13tensor_layout4gemm8RowMajorENS3_11ColumnMajorES4_NS_9f8_fnuz_tENS_7pk_i4_tEfDF16_DF16_NS_16tensor_operation12element_wise11PassThroughESA_SA_LNS8_6device18GemmSpecializationE0ELi256ELi128ELi128ELi128ELi16ELi16ELi16ELi16ELi4ELi4ENS_8SequenceIJLi8ELi32ELi1EEEENSD_IJLi1ELi0ELi2EEEESF_Li2ELi16ELi16ELb0ELi0ENSD_IJLi4ELi64ELi1EEEESF_SF_Li2ELi16ELi16ELb0ELi0ELi1ELi1ENSD_IJLi1ELi32ELi1ELi8EEEELi4ELNS_26BlockGemmPipelineSchedulerE1ELNS_24BlockGemmPipelineVersionE1ES6_S6_Lb0ELb1ELb0ELi0ELb0EEELb1ELNS_25InMemoryDataOperationEnumE0ELi2ELNS_10TailNumberE10EEEvNT_8ArgumentE,comdat
.Lfunc_end4:
	.size	_ZN2ck27kernel_gemm_xdl_cshuffle_v3INS_28GridwiseGemm_xdl_cshuffle_v3INS_13tensor_layout4gemm8RowMajorENS3_11ColumnMajorES4_NS_9f8_fnuz_tENS_7pk_i4_tEfDF16_DF16_NS_16tensor_operation12element_wise11PassThroughESA_SA_LNS8_6device18GemmSpecializationE0ELi256ELi128ELi128ELi128ELi16ELi16ELi16ELi16ELi4ELi4ENS_8SequenceIJLi8ELi32ELi1EEEENSD_IJLi1ELi0ELi2EEEESF_Li2ELi16ELi16ELb0ELi0ENSD_IJLi4ELi64ELi1EEEESF_SF_Li2ELi16ELi16ELb0ELi0ELi1ELi1ENSD_IJLi1ELi32ELi1ELi8EEEELi4ELNS_26BlockGemmPipelineSchedulerE1ELNS_24BlockGemmPipelineVersionE1ES6_S6_Lb0ELb1ELb0ELi0ELb0EEELb1ELNS_25InMemoryDataOperationEnumE0ELi2ELNS_10TailNumberE10EEEvNT_8ArgumentE, .Lfunc_end4-_ZN2ck27kernel_gemm_xdl_cshuffle_v3INS_28GridwiseGemm_xdl_cshuffle_v3INS_13tensor_layout4gemm8RowMajorENS3_11ColumnMajorES4_NS_9f8_fnuz_tENS_7pk_i4_tEfDF16_DF16_NS_16tensor_operation12element_wise11PassThroughESA_SA_LNS8_6device18GemmSpecializationE0ELi256ELi128ELi128ELi128ELi16ELi16ELi16ELi16ELi4ELi4ENS_8SequenceIJLi8ELi32ELi1EEEENSD_IJLi1ELi0ELi2EEEESF_Li2ELi16ELi16ELb0ELi0ENSD_IJLi4ELi64ELi1EEEESF_SF_Li2ELi16ELi16ELb0ELi0ELi1ELi1ENSD_IJLi1ELi32ELi1ELi8EEEELi4ELNS_26BlockGemmPipelineSchedulerE1ELNS_24BlockGemmPipelineVersionE1ES6_S6_Lb0ELb1ELb0ELi0ELb0EEELb1ELNS_25InMemoryDataOperationEnumE0ELi2ELNS_10TailNumberE10EEEvNT_8ArgumentE
                                        ; -- End function
	.set _ZN2ck27kernel_gemm_xdl_cshuffle_v3INS_28GridwiseGemm_xdl_cshuffle_v3INS_13tensor_layout4gemm8RowMajorENS3_11ColumnMajorES4_NS_9f8_fnuz_tENS_7pk_i4_tEfDF16_DF16_NS_16tensor_operation12element_wise11PassThroughESA_SA_LNS8_6device18GemmSpecializationE0ELi256ELi128ELi128ELi128ELi16ELi16ELi16ELi16ELi4ELi4ENS_8SequenceIJLi8ELi32ELi1EEEENSD_IJLi1ELi0ELi2EEEESF_Li2ELi16ELi16ELb0ELi0ENSD_IJLi4ELi64ELi1EEEESF_SF_Li2ELi16ELi16ELb0ELi0ELi1ELi1ENSD_IJLi1ELi32ELi1ELi8EEEELi4ELNS_26BlockGemmPipelineSchedulerE1ELNS_24BlockGemmPipelineVersionE1ES6_S6_Lb0ELb1ELb0ELi0ELb0EEELb1ELNS_25InMemoryDataOperationEnumE0ELi2ELNS_10TailNumberE10EEEvNT_8ArgumentE.num_vgpr, 212
	.set _ZN2ck27kernel_gemm_xdl_cshuffle_v3INS_28GridwiseGemm_xdl_cshuffle_v3INS_13tensor_layout4gemm8RowMajorENS3_11ColumnMajorES4_NS_9f8_fnuz_tENS_7pk_i4_tEfDF16_DF16_NS_16tensor_operation12element_wise11PassThroughESA_SA_LNS8_6device18GemmSpecializationE0ELi256ELi128ELi128ELi128ELi16ELi16ELi16ELi16ELi4ELi4ENS_8SequenceIJLi8ELi32ELi1EEEENSD_IJLi1ELi0ELi2EEEESF_Li2ELi16ELi16ELb0ELi0ENSD_IJLi4ELi64ELi1EEEESF_SF_Li2ELi16ELi16ELb0ELi0ELi1ELi1ENSD_IJLi1ELi32ELi1ELi8EEEELi4ELNS_26BlockGemmPipelineSchedulerE1ELNS_24BlockGemmPipelineVersionE1ES6_S6_Lb0ELb1ELb0ELi0ELb0EEELb1ELNS_25InMemoryDataOperationEnumE0ELi2ELNS_10TailNumberE10EEEvNT_8ArgumentE.num_agpr, 0
	.set _ZN2ck27kernel_gemm_xdl_cshuffle_v3INS_28GridwiseGemm_xdl_cshuffle_v3INS_13tensor_layout4gemm8RowMajorENS3_11ColumnMajorES4_NS_9f8_fnuz_tENS_7pk_i4_tEfDF16_DF16_NS_16tensor_operation12element_wise11PassThroughESA_SA_LNS8_6device18GemmSpecializationE0ELi256ELi128ELi128ELi128ELi16ELi16ELi16ELi16ELi4ELi4ENS_8SequenceIJLi8ELi32ELi1EEEENSD_IJLi1ELi0ELi2EEEESF_Li2ELi16ELi16ELb0ELi0ENSD_IJLi4ELi64ELi1EEEESF_SF_Li2ELi16ELi16ELb0ELi0ELi1ELi1ENSD_IJLi1ELi32ELi1ELi8EEEELi4ELNS_26BlockGemmPipelineSchedulerE1ELNS_24BlockGemmPipelineVersionE1ES6_S6_Lb0ELb1ELb0ELi0ELb0EEELb1ELNS_25InMemoryDataOperationEnumE0ELi2ELNS_10TailNumberE10EEEvNT_8ArgumentE.numbered_sgpr, 30
	.set _ZN2ck27kernel_gemm_xdl_cshuffle_v3INS_28GridwiseGemm_xdl_cshuffle_v3INS_13tensor_layout4gemm8RowMajorENS3_11ColumnMajorES4_NS_9f8_fnuz_tENS_7pk_i4_tEfDF16_DF16_NS_16tensor_operation12element_wise11PassThroughESA_SA_LNS8_6device18GemmSpecializationE0ELi256ELi128ELi128ELi128ELi16ELi16ELi16ELi16ELi4ELi4ENS_8SequenceIJLi8ELi32ELi1EEEENSD_IJLi1ELi0ELi2EEEESF_Li2ELi16ELi16ELb0ELi0ENSD_IJLi4ELi64ELi1EEEESF_SF_Li2ELi16ELi16ELb0ELi0ELi1ELi1ENSD_IJLi1ELi32ELi1ELi8EEEELi4ELNS_26BlockGemmPipelineSchedulerE1ELNS_24BlockGemmPipelineVersionE1ES6_S6_Lb0ELb1ELb0ELi0ELb0EEELb1ELNS_25InMemoryDataOperationEnumE0ELi2ELNS_10TailNumberE10EEEvNT_8ArgumentE.num_named_barrier, 0
	.set _ZN2ck27kernel_gemm_xdl_cshuffle_v3INS_28GridwiseGemm_xdl_cshuffle_v3INS_13tensor_layout4gemm8RowMajorENS3_11ColumnMajorES4_NS_9f8_fnuz_tENS_7pk_i4_tEfDF16_DF16_NS_16tensor_operation12element_wise11PassThroughESA_SA_LNS8_6device18GemmSpecializationE0ELi256ELi128ELi128ELi128ELi16ELi16ELi16ELi16ELi4ELi4ENS_8SequenceIJLi8ELi32ELi1EEEENSD_IJLi1ELi0ELi2EEEESF_Li2ELi16ELi16ELb0ELi0ENSD_IJLi4ELi64ELi1EEEESF_SF_Li2ELi16ELi16ELb0ELi0ELi1ELi1ENSD_IJLi1ELi32ELi1ELi8EEEELi4ELNS_26BlockGemmPipelineSchedulerE1ELNS_24BlockGemmPipelineVersionE1ES6_S6_Lb0ELb1ELb0ELi0ELb0EEELb1ELNS_25InMemoryDataOperationEnumE0ELi2ELNS_10TailNumberE10EEEvNT_8ArgumentE.private_seg_size, 0
	.set _ZN2ck27kernel_gemm_xdl_cshuffle_v3INS_28GridwiseGemm_xdl_cshuffle_v3INS_13tensor_layout4gemm8RowMajorENS3_11ColumnMajorES4_NS_9f8_fnuz_tENS_7pk_i4_tEfDF16_DF16_NS_16tensor_operation12element_wise11PassThroughESA_SA_LNS8_6device18GemmSpecializationE0ELi256ELi128ELi128ELi128ELi16ELi16ELi16ELi16ELi4ELi4ENS_8SequenceIJLi8ELi32ELi1EEEENSD_IJLi1ELi0ELi2EEEESF_Li2ELi16ELi16ELb0ELi0ENSD_IJLi4ELi64ELi1EEEESF_SF_Li2ELi16ELi16ELb0ELi0ELi1ELi1ENSD_IJLi1ELi32ELi1ELi8EEEELi4ELNS_26BlockGemmPipelineSchedulerE1ELNS_24BlockGemmPipelineVersionE1ES6_S6_Lb0ELb1ELb0ELi0ELb0EEELb1ELNS_25InMemoryDataOperationEnumE0ELi2ELNS_10TailNumberE10EEEvNT_8ArgumentE.uses_vcc, 1
	.set _ZN2ck27kernel_gemm_xdl_cshuffle_v3INS_28GridwiseGemm_xdl_cshuffle_v3INS_13tensor_layout4gemm8RowMajorENS3_11ColumnMajorES4_NS_9f8_fnuz_tENS_7pk_i4_tEfDF16_DF16_NS_16tensor_operation12element_wise11PassThroughESA_SA_LNS8_6device18GemmSpecializationE0ELi256ELi128ELi128ELi128ELi16ELi16ELi16ELi16ELi4ELi4ENS_8SequenceIJLi8ELi32ELi1EEEENSD_IJLi1ELi0ELi2EEEESF_Li2ELi16ELi16ELb0ELi0ENSD_IJLi4ELi64ELi1EEEESF_SF_Li2ELi16ELi16ELb0ELi0ELi1ELi1ENSD_IJLi1ELi32ELi1ELi8EEEELi4ELNS_26BlockGemmPipelineSchedulerE1ELNS_24BlockGemmPipelineVersionE1ES6_S6_Lb0ELb1ELb0ELi0ELb0EEELb1ELNS_25InMemoryDataOperationEnumE0ELi2ELNS_10TailNumberE10EEEvNT_8ArgumentE.uses_flat_scratch, 0
	.set _ZN2ck27kernel_gemm_xdl_cshuffle_v3INS_28GridwiseGemm_xdl_cshuffle_v3INS_13tensor_layout4gemm8RowMajorENS3_11ColumnMajorES4_NS_9f8_fnuz_tENS_7pk_i4_tEfDF16_DF16_NS_16tensor_operation12element_wise11PassThroughESA_SA_LNS8_6device18GemmSpecializationE0ELi256ELi128ELi128ELi128ELi16ELi16ELi16ELi16ELi4ELi4ENS_8SequenceIJLi8ELi32ELi1EEEENSD_IJLi1ELi0ELi2EEEESF_Li2ELi16ELi16ELb0ELi0ENSD_IJLi4ELi64ELi1EEEESF_SF_Li2ELi16ELi16ELb0ELi0ELi1ELi1ENSD_IJLi1ELi32ELi1ELi8EEEELi4ELNS_26BlockGemmPipelineSchedulerE1ELNS_24BlockGemmPipelineVersionE1ES6_S6_Lb0ELb1ELb0ELi0ELb0EEELb1ELNS_25InMemoryDataOperationEnumE0ELi2ELNS_10TailNumberE10EEEvNT_8ArgumentE.has_dyn_sized_stack, 0
	.set _ZN2ck27kernel_gemm_xdl_cshuffle_v3INS_28GridwiseGemm_xdl_cshuffle_v3INS_13tensor_layout4gemm8RowMajorENS3_11ColumnMajorES4_NS_9f8_fnuz_tENS_7pk_i4_tEfDF16_DF16_NS_16tensor_operation12element_wise11PassThroughESA_SA_LNS8_6device18GemmSpecializationE0ELi256ELi128ELi128ELi128ELi16ELi16ELi16ELi16ELi4ELi4ENS_8SequenceIJLi8ELi32ELi1EEEENSD_IJLi1ELi0ELi2EEEESF_Li2ELi16ELi16ELb0ELi0ENSD_IJLi4ELi64ELi1EEEESF_SF_Li2ELi16ELi16ELb0ELi0ELi1ELi1ENSD_IJLi1ELi32ELi1ELi8EEEELi4ELNS_26BlockGemmPipelineSchedulerE1ELNS_24BlockGemmPipelineVersionE1ES6_S6_Lb0ELb1ELb0ELi0ELb0EEELb1ELNS_25InMemoryDataOperationEnumE0ELi2ELNS_10TailNumberE10EEEvNT_8ArgumentE.has_recursion, 0
	.set _ZN2ck27kernel_gemm_xdl_cshuffle_v3INS_28GridwiseGemm_xdl_cshuffle_v3INS_13tensor_layout4gemm8RowMajorENS3_11ColumnMajorES4_NS_9f8_fnuz_tENS_7pk_i4_tEfDF16_DF16_NS_16tensor_operation12element_wise11PassThroughESA_SA_LNS8_6device18GemmSpecializationE0ELi256ELi128ELi128ELi128ELi16ELi16ELi16ELi16ELi4ELi4ENS_8SequenceIJLi8ELi32ELi1EEEENSD_IJLi1ELi0ELi2EEEESF_Li2ELi16ELi16ELb0ELi0ENSD_IJLi4ELi64ELi1EEEESF_SF_Li2ELi16ELi16ELb0ELi0ELi1ELi1ENSD_IJLi1ELi32ELi1ELi8EEEELi4ELNS_26BlockGemmPipelineSchedulerE1ELNS_24BlockGemmPipelineVersionE1ES6_S6_Lb0ELb1ELb0ELi0ELb0EEELb1ELNS_25InMemoryDataOperationEnumE0ELi2ELNS_10TailNumberE10EEEvNT_8ArgumentE.has_indirect_call, 0
	.section	.AMDGPU.csdata,"",@progbits
; Kernel info:
; codeLenInByte = 19776
; TotalNumSgprs: 36
; NumVgprs: 212
; NumAgprs: 0
; TotalNumVgprs: 212
; ScratchSize: 0
; MemoryBound: 0
; FloatMode: 240
; IeeeMode: 1
; LDSByteSize: 24576 bytes/workgroup (compile time only)
; SGPRBlocks: 12
; VGPRBlocks: 26
; NumSGPRsForWavesPerEU: 97
; NumVGPRsForWavesPerEU: 212
; AccumOffset: 212
; Occupancy: 2
; WaveLimiterHint : 0
; COMPUTE_PGM_RSRC2:SCRATCH_EN: 0
; COMPUTE_PGM_RSRC2:USER_SGPR: 2
; COMPUTE_PGM_RSRC2:TRAP_HANDLER: 0
; COMPUTE_PGM_RSRC2:TGID_X_EN: 1
; COMPUTE_PGM_RSRC2:TGID_Y_EN: 0
; COMPUTE_PGM_RSRC2:TGID_Z_EN: 1
; COMPUTE_PGM_RSRC2:TIDIG_COMP_CNT: 0
; COMPUTE_PGM_RSRC3_GFX90A:ACCUM_OFFSET: 52
; COMPUTE_PGM_RSRC3_GFX90A:TG_SPLIT: 0
	.section	.text._ZN2ck27kernel_gemm_xdl_cshuffle_v3INS_28GridwiseGemm_xdl_cshuffle_v3INS_13tensor_layout4gemm8RowMajorENS3_11ColumnMajorES4_NS_9f8_fnuz_tENS_7pk_i4_tEfDF16_DF16_NS_16tensor_operation12element_wise11PassThroughESA_SA_LNS8_6device18GemmSpecializationE0ELi256ELi128ELi128ELi128ELi16ELi16ELi16ELi16ELi4ELi2ENS_8SequenceIJLi8ELi32ELi1EEEENSD_IJLi1ELi0ELi2EEEESF_Li2ELi16ELi16ELb0ELi0ENSD_IJLi4ELi64ELi1EEEESF_SF_Li2ELi16ELi16ELb0ELi0ELi1ELi1ENSD_IJLi1ELi32ELi1ELi8EEEELi4ELNS_26BlockGemmPipelineSchedulerE1ELNS_24BlockGemmPipelineVersionE1ES6_S6_Lb0ELb1ELb0ELi0ELb0EEELb1ELNS_25InMemoryDataOperationEnumE1ELi2ELNS_10TailNumberE2EEEvNT_8ArgumentE,"axG",@progbits,_ZN2ck27kernel_gemm_xdl_cshuffle_v3INS_28GridwiseGemm_xdl_cshuffle_v3INS_13tensor_layout4gemm8RowMajorENS3_11ColumnMajorES4_NS_9f8_fnuz_tENS_7pk_i4_tEfDF16_DF16_NS_16tensor_operation12element_wise11PassThroughESA_SA_LNS8_6device18GemmSpecializationE0ELi256ELi128ELi128ELi128ELi16ELi16ELi16ELi16ELi4ELi2ENS_8SequenceIJLi8ELi32ELi1EEEENSD_IJLi1ELi0ELi2EEEESF_Li2ELi16ELi16ELb0ELi0ENSD_IJLi4ELi64ELi1EEEESF_SF_Li2ELi16ELi16ELb0ELi0ELi1ELi1ENSD_IJLi1ELi32ELi1ELi8EEEELi4ELNS_26BlockGemmPipelineSchedulerE1ELNS_24BlockGemmPipelineVersionE1ES6_S6_Lb0ELb1ELb0ELi0ELb0EEELb1ELNS_25InMemoryDataOperationEnumE1ELi2ELNS_10TailNumberE2EEEvNT_8ArgumentE,comdat
	.protected	_ZN2ck27kernel_gemm_xdl_cshuffle_v3INS_28GridwiseGemm_xdl_cshuffle_v3INS_13tensor_layout4gemm8RowMajorENS3_11ColumnMajorES4_NS_9f8_fnuz_tENS_7pk_i4_tEfDF16_DF16_NS_16tensor_operation12element_wise11PassThroughESA_SA_LNS8_6device18GemmSpecializationE0ELi256ELi128ELi128ELi128ELi16ELi16ELi16ELi16ELi4ELi2ENS_8SequenceIJLi8ELi32ELi1EEEENSD_IJLi1ELi0ELi2EEEESF_Li2ELi16ELi16ELb0ELi0ENSD_IJLi4ELi64ELi1EEEESF_SF_Li2ELi16ELi16ELb0ELi0ELi1ELi1ENSD_IJLi1ELi32ELi1ELi8EEEELi4ELNS_26BlockGemmPipelineSchedulerE1ELNS_24BlockGemmPipelineVersionE1ES6_S6_Lb0ELb1ELb0ELi0ELb0EEELb1ELNS_25InMemoryDataOperationEnumE1ELi2ELNS_10TailNumberE2EEEvNT_8ArgumentE ; -- Begin function _ZN2ck27kernel_gemm_xdl_cshuffle_v3INS_28GridwiseGemm_xdl_cshuffle_v3INS_13tensor_layout4gemm8RowMajorENS3_11ColumnMajorES4_NS_9f8_fnuz_tENS_7pk_i4_tEfDF16_DF16_NS_16tensor_operation12element_wise11PassThroughESA_SA_LNS8_6device18GemmSpecializationE0ELi256ELi128ELi128ELi128ELi16ELi16ELi16ELi16ELi4ELi2ENS_8SequenceIJLi8ELi32ELi1EEEENSD_IJLi1ELi0ELi2EEEESF_Li2ELi16ELi16ELb0ELi0ENSD_IJLi4ELi64ELi1EEEESF_SF_Li2ELi16ELi16ELb0ELi0ELi1ELi1ENSD_IJLi1ELi32ELi1ELi8EEEELi4ELNS_26BlockGemmPipelineSchedulerE1ELNS_24BlockGemmPipelineVersionE1ES6_S6_Lb0ELb1ELb0ELi0ELb0EEELb1ELNS_25InMemoryDataOperationEnumE1ELi2ELNS_10TailNumberE2EEEvNT_8ArgumentE
	.globl	_ZN2ck27kernel_gemm_xdl_cshuffle_v3INS_28GridwiseGemm_xdl_cshuffle_v3INS_13tensor_layout4gemm8RowMajorENS3_11ColumnMajorES4_NS_9f8_fnuz_tENS_7pk_i4_tEfDF16_DF16_NS_16tensor_operation12element_wise11PassThroughESA_SA_LNS8_6device18GemmSpecializationE0ELi256ELi128ELi128ELi128ELi16ELi16ELi16ELi16ELi4ELi2ENS_8SequenceIJLi8ELi32ELi1EEEENSD_IJLi1ELi0ELi2EEEESF_Li2ELi16ELi16ELb0ELi0ENSD_IJLi4ELi64ELi1EEEESF_SF_Li2ELi16ELi16ELb0ELi0ELi1ELi1ENSD_IJLi1ELi32ELi1ELi8EEEELi4ELNS_26BlockGemmPipelineSchedulerE1ELNS_24BlockGemmPipelineVersionE1ES6_S6_Lb0ELb1ELb0ELi0ELb0EEELb1ELNS_25InMemoryDataOperationEnumE1ELi2ELNS_10TailNumberE2EEEvNT_8ArgumentE
	.p2align	8
	.type	_ZN2ck27kernel_gemm_xdl_cshuffle_v3INS_28GridwiseGemm_xdl_cshuffle_v3INS_13tensor_layout4gemm8RowMajorENS3_11ColumnMajorES4_NS_9f8_fnuz_tENS_7pk_i4_tEfDF16_DF16_NS_16tensor_operation12element_wise11PassThroughESA_SA_LNS8_6device18GemmSpecializationE0ELi256ELi128ELi128ELi128ELi16ELi16ELi16ELi16ELi4ELi2ENS_8SequenceIJLi8ELi32ELi1EEEENSD_IJLi1ELi0ELi2EEEESF_Li2ELi16ELi16ELb0ELi0ENSD_IJLi4ELi64ELi1EEEESF_SF_Li2ELi16ELi16ELb0ELi0ELi1ELi1ENSD_IJLi1ELi32ELi1ELi8EEEELi4ELNS_26BlockGemmPipelineSchedulerE1ELNS_24BlockGemmPipelineVersionE1ES6_S6_Lb0ELb1ELb0ELi0ELb0EEELb1ELNS_25InMemoryDataOperationEnumE1ELi2ELNS_10TailNumberE2EEEvNT_8ArgumentE,@function
_ZN2ck27kernel_gemm_xdl_cshuffle_v3INS_28GridwiseGemm_xdl_cshuffle_v3INS_13tensor_layout4gemm8RowMajorENS3_11ColumnMajorES4_NS_9f8_fnuz_tENS_7pk_i4_tEfDF16_DF16_NS_16tensor_operation12element_wise11PassThroughESA_SA_LNS8_6device18GemmSpecializationE0ELi256ELi128ELi128ELi128ELi16ELi16ELi16ELi16ELi4ELi2ENS_8SequenceIJLi8ELi32ELi1EEEENSD_IJLi1ELi0ELi2EEEESF_Li2ELi16ELi16ELb0ELi0ENSD_IJLi4ELi64ELi1EEEESF_SF_Li2ELi16ELi16ELb0ELi0ELi1ELi1ENSD_IJLi1ELi32ELi1ELi8EEEELi4ELNS_26BlockGemmPipelineSchedulerE1ELNS_24BlockGemmPipelineVersionE1ES6_S6_Lb0ELb1ELb0ELi0ELb0EEELb1ELNS_25InMemoryDataOperationEnumE1ELi2ELNS_10TailNumberE2EEEvNT_8ArgumentE: ; @_ZN2ck27kernel_gemm_xdl_cshuffle_v3INS_28GridwiseGemm_xdl_cshuffle_v3INS_13tensor_layout4gemm8RowMajorENS3_11ColumnMajorES4_NS_9f8_fnuz_tENS_7pk_i4_tEfDF16_DF16_NS_16tensor_operation12element_wise11PassThroughESA_SA_LNS8_6device18GemmSpecializationE0ELi256ELi128ELi128ELi128ELi16ELi16ELi16ELi16ELi4ELi2ENS_8SequenceIJLi8ELi32ELi1EEEENSD_IJLi1ELi0ELi2EEEESF_Li2ELi16ELi16ELb0ELi0ENSD_IJLi4ELi64ELi1EEEESF_SF_Li2ELi16ELi16ELb0ELi0ELi1ELi1ENSD_IJLi1ELi32ELi1ELi8EEEELi4ELNS_26BlockGemmPipelineSchedulerE1ELNS_24BlockGemmPipelineVersionE1ES6_S6_Lb0ELb1ELb0ELi0ELb0EEELb1ELNS_25InMemoryDataOperationEnumE1ELi2ELNS_10TailNumberE2EEEvNT_8ArgumentE
; %bb.0:
	s_endpgm
	.section	.rodata,"a",@progbits
	.p2align	6, 0x0
	.amdhsa_kernel _ZN2ck27kernel_gemm_xdl_cshuffle_v3INS_28GridwiseGemm_xdl_cshuffle_v3INS_13tensor_layout4gemm8RowMajorENS3_11ColumnMajorES4_NS_9f8_fnuz_tENS_7pk_i4_tEfDF16_DF16_NS_16tensor_operation12element_wise11PassThroughESA_SA_LNS8_6device18GemmSpecializationE0ELi256ELi128ELi128ELi128ELi16ELi16ELi16ELi16ELi4ELi2ENS_8SequenceIJLi8ELi32ELi1EEEENSD_IJLi1ELi0ELi2EEEESF_Li2ELi16ELi16ELb0ELi0ENSD_IJLi4ELi64ELi1EEEESF_SF_Li2ELi16ELi16ELb0ELi0ELi1ELi1ENSD_IJLi1ELi32ELi1ELi8EEEELi4ELNS_26BlockGemmPipelineSchedulerE1ELNS_24BlockGemmPipelineVersionE1ES6_S6_Lb0ELb1ELb0ELi0ELb0EEELb1ELNS_25InMemoryDataOperationEnumE1ELi2ELNS_10TailNumberE2EEEvNT_8ArgumentE
		.amdhsa_group_segment_fixed_size 0
		.amdhsa_private_segment_fixed_size 0
		.amdhsa_kernarg_size 112
		.amdhsa_user_sgpr_count 2
		.amdhsa_user_sgpr_dispatch_ptr 0
		.amdhsa_user_sgpr_queue_ptr 0
		.amdhsa_user_sgpr_kernarg_segment_ptr 1
		.amdhsa_user_sgpr_dispatch_id 0
		.amdhsa_user_sgpr_kernarg_preload_length 0
		.amdhsa_user_sgpr_kernarg_preload_offset 0
		.amdhsa_user_sgpr_private_segment_size 0
		.amdhsa_uses_dynamic_stack 0
		.amdhsa_enable_private_segment 0
		.amdhsa_system_sgpr_workgroup_id_x 1
		.amdhsa_system_sgpr_workgroup_id_y 0
		.amdhsa_system_sgpr_workgroup_id_z 0
		.amdhsa_system_sgpr_workgroup_info 0
		.amdhsa_system_vgpr_workitem_id 0
		.amdhsa_next_free_vgpr 1
		.amdhsa_next_free_sgpr 0
		.amdhsa_accum_offset 4
		.amdhsa_reserve_vcc 0
		.amdhsa_float_round_mode_32 0
		.amdhsa_float_round_mode_16_64 0
		.amdhsa_float_denorm_mode_32 3
		.amdhsa_float_denorm_mode_16_64 3
		.amdhsa_dx10_clamp 1
		.amdhsa_ieee_mode 1
		.amdhsa_fp16_overflow 0
		.amdhsa_tg_split 0
		.amdhsa_exception_fp_ieee_invalid_op 0
		.amdhsa_exception_fp_denorm_src 0
		.amdhsa_exception_fp_ieee_div_zero 0
		.amdhsa_exception_fp_ieee_overflow 0
		.amdhsa_exception_fp_ieee_underflow 0
		.amdhsa_exception_fp_ieee_inexact 0
		.amdhsa_exception_int_div_zero 0
	.end_amdhsa_kernel
	.section	.text._ZN2ck27kernel_gemm_xdl_cshuffle_v3INS_28GridwiseGemm_xdl_cshuffle_v3INS_13tensor_layout4gemm8RowMajorENS3_11ColumnMajorES4_NS_9f8_fnuz_tENS_7pk_i4_tEfDF16_DF16_NS_16tensor_operation12element_wise11PassThroughESA_SA_LNS8_6device18GemmSpecializationE0ELi256ELi128ELi128ELi128ELi16ELi16ELi16ELi16ELi4ELi2ENS_8SequenceIJLi8ELi32ELi1EEEENSD_IJLi1ELi0ELi2EEEESF_Li2ELi16ELi16ELb0ELi0ENSD_IJLi4ELi64ELi1EEEESF_SF_Li2ELi16ELi16ELb0ELi0ELi1ELi1ENSD_IJLi1ELi32ELi1ELi8EEEELi4ELNS_26BlockGemmPipelineSchedulerE1ELNS_24BlockGemmPipelineVersionE1ES6_S6_Lb0ELb1ELb0ELi0ELb0EEELb1ELNS_25InMemoryDataOperationEnumE1ELi2ELNS_10TailNumberE2EEEvNT_8ArgumentE,"axG",@progbits,_ZN2ck27kernel_gemm_xdl_cshuffle_v3INS_28GridwiseGemm_xdl_cshuffle_v3INS_13tensor_layout4gemm8RowMajorENS3_11ColumnMajorES4_NS_9f8_fnuz_tENS_7pk_i4_tEfDF16_DF16_NS_16tensor_operation12element_wise11PassThroughESA_SA_LNS8_6device18GemmSpecializationE0ELi256ELi128ELi128ELi128ELi16ELi16ELi16ELi16ELi4ELi2ENS_8SequenceIJLi8ELi32ELi1EEEENSD_IJLi1ELi0ELi2EEEESF_Li2ELi16ELi16ELb0ELi0ENSD_IJLi4ELi64ELi1EEEESF_SF_Li2ELi16ELi16ELb0ELi0ELi1ELi1ENSD_IJLi1ELi32ELi1ELi8EEEELi4ELNS_26BlockGemmPipelineSchedulerE1ELNS_24BlockGemmPipelineVersionE1ES6_S6_Lb0ELb1ELb0ELi0ELb0EEELb1ELNS_25InMemoryDataOperationEnumE1ELi2ELNS_10TailNumberE2EEEvNT_8ArgumentE,comdat
.Lfunc_end5:
	.size	_ZN2ck27kernel_gemm_xdl_cshuffle_v3INS_28GridwiseGemm_xdl_cshuffle_v3INS_13tensor_layout4gemm8RowMajorENS3_11ColumnMajorES4_NS_9f8_fnuz_tENS_7pk_i4_tEfDF16_DF16_NS_16tensor_operation12element_wise11PassThroughESA_SA_LNS8_6device18GemmSpecializationE0ELi256ELi128ELi128ELi128ELi16ELi16ELi16ELi16ELi4ELi2ENS_8SequenceIJLi8ELi32ELi1EEEENSD_IJLi1ELi0ELi2EEEESF_Li2ELi16ELi16ELb0ELi0ENSD_IJLi4ELi64ELi1EEEESF_SF_Li2ELi16ELi16ELb0ELi0ELi1ELi1ENSD_IJLi1ELi32ELi1ELi8EEEELi4ELNS_26BlockGemmPipelineSchedulerE1ELNS_24BlockGemmPipelineVersionE1ES6_S6_Lb0ELb1ELb0ELi0ELb0EEELb1ELNS_25InMemoryDataOperationEnumE1ELi2ELNS_10TailNumberE2EEEvNT_8ArgumentE, .Lfunc_end5-_ZN2ck27kernel_gemm_xdl_cshuffle_v3INS_28GridwiseGemm_xdl_cshuffle_v3INS_13tensor_layout4gemm8RowMajorENS3_11ColumnMajorES4_NS_9f8_fnuz_tENS_7pk_i4_tEfDF16_DF16_NS_16tensor_operation12element_wise11PassThroughESA_SA_LNS8_6device18GemmSpecializationE0ELi256ELi128ELi128ELi128ELi16ELi16ELi16ELi16ELi4ELi2ENS_8SequenceIJLi8ELi32ELi1EEEENSD_IJLi1ELi0ELi2EEEESF_Li2ELi16ELi16ELb0ELi0ENSD_IJLi4ELi64ELi1EEEESF_SF_Li2ELi16ELi16ELb0ELi0ELi1ELi1ENSD_IJLi1ELi32ELi1ELi8EEEELi4ELNS_26BlockGemmPipelineSchedulerE1ELNS_24BlockGemmPipelineVersionE1ES6_S6_Lb0ELb1ELb0ELi0ELb0EEELb1ELNS_25InMemoryDataOperationEnumE1ELi2ELNS_10TailNumberE2EEEvNT_8ArgumentE
                                        ; -- End function
	.set _ZN2ck27kernel_gemm_xdl_cshuffle_v3INS_28GridwiseGemm_xdl_cshuffle_v3INS_13tensor_layout4gemm8RowMajorENS3_11ColumnMajorES4_NS_9f8_fnuz_tENS_7pk_i4_tEfDF16_DF16_NS_16tensor_operation12element_wise11PassThroughESA_SA_LNS8_6device18GemmSpecializationE0ELi256ELi128ELi128ELi128ELi16ELi16ELi16ELi16ELi4ELi2ENS_8SequenceIJLi8ELi32ELi1EEEENSD_IJLi1ELi0ELi2EEEESF_Li2ELi16ELi16ELb0ELi0ENSD_IJLi4ELi64ELi1EEEESF_SF_Li2ELi16ELi16ELb0ELi0ELi1ELi1ENSD_IJLi1ELi32ELi1ELi8EEEELi4ELNS_26BlockGemmPipelineSchedulerE1ELNS_24BlockGemmPipelineVersionE1ES6_S6_Lb0ELb1ELb0ELi0ELb0EEELb1ELNS_25InMemoryDataOperationEnumE1ELi2ELNS_10TailNumberE2EEEvNT_8ArgumentE.num_vgpr, 0
	.set _ZN2ck27kernel_gemm_xdl_cshuffle_v3INS_28GridwiseGemm_xdl_cshuffle_v3INS_13tensor_layout4gemm8RowMajorENS3_11ColumnMajorES4_NS_9f8_fnuz_tENS_7pk_i4_tEfDF16_DF16_NS_16tensor_operation12element_wise11PassThroughESA_SA_LNS8_6device18GemmSpecializationE0ELi256ELi128ELi128ELi128ELi16ELi16ELi16ELi16ELi4ELi2ENS_8SequenceIJLi8ELi32ELi1EEEENSD_IJLi1ELi0ELi2EEEESF_Li2ELi16ELi16ELb0ELi0ENSD_IJLi4ELi64ELi1EEEESF_SF_Li2ELi16ELi16ELb0ELi0ELi1ELi1ENSD_IJLi1ELi32ELi1ELi8EEEELi4ELNS_26BlockGemmPipelineSchedulerE1ELNS_24BlockGemmPipelineVersionE1ES6_S6_Lb0ELb1ELb0ELi0ELb0EEELb1ELNS_25InMemoryDataOperationEnumE1ELi2ELNS_10TailNumberE2EEEvNT_8ArgumentE.num_agpr, 0
	.set _ZN2ck27kernel_gemm_xdl_cshuffle_v3INS_28GridwiseGemm_xdl_cshuffle_v3INS_13tensor_layout4gemm8RowMajorENS3_11ColumnMajorES4_NS_9f8_fnuz_tENS_7pk_i4_tEfDF16_DF16_NS_16tensor_operation12element_wise11PassThroughESA_SA_LNS8_6device18GemmSpecializationE0ELi256ELi128ELi128ELi128ELi16ELi16ELi16ELi16ELi4ELi2ENS_8SequenceIJLi8ELi32ELi1EEEENSD_IJLi1ELi0ELi2EEEESF_Li2ELi16ELi16ELb0ELi0ENSD_IJLi4ELi64ELi1EEEESF_SF_Li2ELi16ELi16ELb0ELi0ELi1ELi1ENSD_IJLi1ELi32ELi1ELi8EEEELi4ELNS_26BlockGemmPipelineSchedulerE1ELNS_24BlockGemmPipelineVersionE1ES6_S6_Lb0ELb1ELb0ELi0ELb0EEELb1ELNS_25InMemoryDataOperationEnumE1ELi2ELNS_10TailNumberE2EEEvNT_8ArgumentE.numbered_sgpr, 0
	.set _ZN2ck27kernel_gemm_xdl_cshuffle_v3INS_28GridwiseGemm_xdl_cshuffle_v3INS_13tensor_layout4gemm8RowMajorENS3_11ColumnMajorES4_NS_9f8_fnuz_tENS_7pk_i4_tEfDF16_DF16_NS_16tensor_operation12element_wise11PassThroughESA_SA_LNS8_6device18GemmSpecializationE0ELi256ELi128ELi128ELi128ELi16ELi16ELi16ELi16ELi4ELi2ENS_8SequenceIJLi8ELi32ELi1EEEENSD_IJLi1ELi0ELi2EEEESF_Li2ELi16ELi16ELb0ELi0ENSD_IJLi4ELi64ELi1EEEESF_SF_Li2ELi16ELi16ELb0ELi0ELi1ELi1ENSD_IJLi1ELi32ELi1ELi8EEEELi4ELNS_26BlockGemmPipelineSchedulerE1ELNS_24BlockGemmPipelineVersionE1ES6_S6_Lb0ELb1ELb0ELi0ELb0EEELb1ELNS_25InMemoryDataOperationEnumE1ELi2ELNS_10TailNumberE2EEEvNT_8ArgumentE.num_named_barrier, 0
	.set _ZN2ck27kernel_gemm_xdl_cshuffle_v3INS_28GridwiseGemm_xdl_cshuffle_v3INS_13tensor_layout4gemm8RowMajorENS3_11ColumnMajorES4_NS_9f8_fnuz_tENS_7pk_i4_tEfDF16_DF16_NS_16tensor_operation12element_wise11PassThroughESA_SA_LNS8_6device18GemmSpecializationE0ELi256ELi128ELi128ELi128ELi16ELi16ELi16ELi16ELi4ELi2ENS_8SequenceIJLi8ELi32ELi1EEEENSD_IJLi1ELi0ELi2EEEESF_Li2ELi16ELi16ELb0ELi0ENSD_IJLi4ELi64ELi1EEEESF_SF_Li2ELi16ELi16ELb0ELi0ELi1ELi1ENSD_IJLi1ELi32ELi1ELi8EEEELi4ELNS_26BlockGemmPipelineSchedulerE1ELNS_24BlockGemmPipelineVersionE1ES6_S6_Lb0ELb1ELb0ELi0ELb0EEELb1ELNS_25InMemoryDataOperationEnumE1ELi2ELNS_10TailNumberE2EEEvNT_8ArgumentE.private_seg_size, 0
	.set _ZN2ck27kernel_gemm_xdl_cshuffle_v3INS_28GridwiseGemm_xdl_cshuffle_v3INS_13tensor_layout4gemm8RowMajorENS3_11ColumnMajorES4_NS_9f8_fnuz_tENS_7pk_i4_tEfDF16_DF16_NS_16tensor_operation12element_wise11PassThroughESA_SA_LNS8_6device18GemmSpecializationE0ELi256ELi128ELi128ELi128ELi16ELi16ELi16ELi16ELi4ELi2ENS_8SequenceIJLi8ELi32ELi1EEEENSD_IJLi1ELi0ELi2EEEESF_Li2ELi16ELi16ELb0ELi0ENSD_IJLi4ELi64ELi1EEEESF_SF_Li2ELi16ELi16ELb0ELi0ELi1ELi1ENSD_IJLi1ELi32ELi1ELi8EEEELi4ELNS_26BlockGemmPipelineSchedulerE1ELNS_24BlockGemmPipelineVersionE1ES6_S6_Lb0ELb1ELb0ELi0ELb0EEELb1ELNS_25InMemoryDataOperationEnumE1ELi2ELNS_10TailNumberE2EEEvNT_8ArgumentE.uses_vcc, 0
	.set _ZN2ck27kernel_gemm_xdl_cshuffle_v3INS_28GridwiseGemm_xdl_cshuffle_v3INS_13tensor_layout4gemm8RowMajorENS3_11ColumnMajorES4_NS_9f8_fnuz_tENS_7pk_i4_tEfDF16_DF16_NS_16tensor_operation12element_wise11PassThroughESA_SA_LNS8_6device18GemmSpecializationE0ELi256ELi128ELi128ELi128ELi16ELi16ELi16ELi16ELi4ELi2ENS_8SequenceIJLi8ELi32ELi1EEEENSD_IJLi1ELi0ELi2EEEESF_Li2ELi16ELi16ELb0ELi0ENSD_IJLi4ELi64ELi1EEEESF_SF_Li2ELi16ELi16ELb0ELi0ELi1ELi1ENSD_IJLi1ELi32ELi1ELi8EEEELi4ELNS_26BlockGemmPipelineSchedulerE1ELNS_24BlockGemmPipelineVersionE1ES6_S6_Lb0ELb1ELb0ELi0ELb0EEELb1ELNS_25InMemoryDataOperationEnumE1ELi2ELNS_10TailNumberE2EEEvNT_8ArgumentE.uses_flat_scratch, 0
	.set _ZN2ck27kernel_gemm_xdl_cshuffle_v3INS_28GridwiseGemm_xdl_cshuffle_v3INS_13tensor_layout4gemm8RowMajorENS3_11ColumnMajorES4_NS_9f8_fnuz_tENS_7pk_i4_tEfDF16_DF16_NS_16tensor_operation12element_wise11PassThroughESA_SA_LNS8_6device18GemmSpecializationE0ELi256ELi128ELi128ELi128ELi16ELi16ELi16ELi16ELi4ELi2ENS_8SequenceIJLi8ELi32ELi1EEEENSD_IJLi1ELi0ELi2EEEESF_Li2ELi16ELi16ELb0ELi0ENSD_IJLi4ELi64ELi1EEEESF_SF_Li2ELi16ELi16ELb0ELi0ELi1ELi1ENSD_IJLi1ELi32ELi1ELi8EEEELi4ELNS_26BlockGemmPipelineSchedulerE1ELNS_24BlockGemmPipelineVersionE1ES6_S6_Lb0ELb1ELb0ELi0ELb0EEELb1ELNS_25InMemoryDataOperationEnumE1ELi2ELNS_10TailNumberE2EEEvNT_8ArgumentE.has_dyn_sized_stack, 0
	.set _ZN2ck27kernel_gemm_xdl_cshuffle_v3INS_28GridwiseGemm_xdl_cshuffle_v3INS_13tensor_layout4gemm8RowMajorENS3_11ColumnMajorES4_NS_9f8_fnuz_tENS_7pk_i4_tEfDF16_DF16_NS_16tensor_operation12element_wise11PassThroughESA_SA_LNS8_6device18GemmSpecializationE0ELi256ELi128ELi128ELi128ELi16ELi16ELi16ELi16ELi4ELi2ENS_8SequenceIJLi8ELi32ELi1EEEENSD_IJLi1ELi0ELi2EEEESF_Li2ELi16ELi16ELb0ELi0ENSD_IJLi4ELi64ELi1EEEESF_SF_Li2ELi16ELi16ELb0ELi0ELi1ELi1ENSD_IJLi1ELi32ELi1ELi8EEEELi4ELNS_26BlockGemmPipelineSchedulerE1ELNS_24BlockGemmPipelineVersionE1ES6_S6_Lb0ELb1ELb0ELi0ELb0EEELb1ELNS_25InMemoryDataOperationEnumE1ELi2ELNS_10TailNumberE2EEEvNT_8ArgumentE.has_recursion, 0
	.set _ZN2ck27kernel_gemm_xdl_cshuffle_v3INS_28GridwiseGemm_xdl_cshuffle_v3INS_13tensor_layout4gemm8RowMajorENS3_11ColumnMajorES4_NS_9f8_fnuz_tENS_7pk_i4_tEfDF16_DF16_NS_16tensor_operation12element_wise11PassThroughESA_SA_LNS8_6device18GemmSpecializationE0ELi256ELi128ELi128ELi128ELi16ELi16ELi16ELi16ELi4ELi2ENS_8SequenceIJLi8ELi32ELi1EEEENSD_IJLi1ELi0ELi2EEEESF_Li2ELi16ELi16ELb0ELi0ENSD_IJLi4ELi64ELi1EEEESF_SF_Li2ELi16ELi16ELb0ELi0ELi1ELi1ENSD_IJLi1ELi32ELi1ELi8EEEELi4ELNS_26BlockGemmPipelineSchedulerE1ELNS_24BlockGemmPipelineVersionE1ES6_S6_Lb0ELb1ELb0ELi0ELb0EEELb1ELNS_25InMemoryDataOperationEnumE1ELi2ELNS_10TailNumberE2EEEvNT_8ArgumentE.has_indirect_call, 0
	.section	.AMDGPU.csdata,"",@progbits
; Kernel info:
; codeLenInByte = 4
; TotalNumSgprs: 6
; NumVgprs: 0
; NumAgprs: 0
; TotalNumVgprs: 0
; ScratchSize: 0
; MemoryBound: 0
; FloatMode: 240
; IeeeMode: 1
; LDSByteSize: 0 bytes/workgroup (compile time only)
; SGPRBlocks: 0
; VGPRBlocks: 0
; NumSGPRsForWavesPerEU: 6
; NumVGPRsForWavesPerEU: 1
; AccumOffset: 4
; Occupancy: 8
; WaveLimiterHint : 0
; COMPUTE_PGM_RSRC2:SCRATCH_EN: 0
; COMPUTE_PGM_RSRC2:USER_SGPR: 2
; COMPUTE_PGM_RSRC2:TRAP_HANDLER: 0
; COMPUTE_PGM_RSRC2:TGID_X_EN: 1
; COMPUTE_PGM_RSRC2:TGID_Y_EN: 0
; COMPUTE_PGM_RSRC2:TGID_Z_EN: 0
; COMPUTE_PGM_RSRC2:TIDIG_COMP_CNT: 0
; COMPUTE_PGM_RSRC3_GFX90A:ACCUM_OFFSET: 0
; COMPUTE_PGM_RSRC3_GFX90A:TG_SPLIT: 0
	.section	.text._ZN2ck27kernel_gemm_xdl_cshuffle_v3INS_28GridwiseGemm_xdl_cshuffle_v3INS_13tensor_layout4gemm8RowMajorENS3_11ColumnMajorES4_NS_9f8_fnuz_tENS_7pk_i4_tEfDF16_DF16_NS_16tensor_operation12element_wise11PassThroughESA_SA_LNS8_6device18GemmSpecializationE0ELi256ELi128ELi128ELi128ELi16ELi16ELi16ELi16ELi4ELi2ENS_8SequenceIJLi8ELi32ELi1EEEENSD_IJLi1ELi0ELi2EEEESF_Li2ELi16ELi16ELb0ELi0ENSD_IJLi4ELi64ELi1EEEESF_SF_Li2ELi16ELi16ELb0ELi0ELi1ELi1ENSD_IJLi1ELi32ELi1ELi8EEEELi4ELNS_26BlockGemmPipelineSchedulerE1ELNS_24BlockGemmPipelineVersionE1ES6_S6_Lb0ELb1ELb0ELi0ELb0EEELb1ELNS_25InMemoryDataOperationEnumE1ELi2ELNS_10TailNumberE10EEEvNT_8ArgumentE,"axG",@progbits,_ZN2ck27kernel_gemm_xdl_cshuffle_v3INS_28GridwiseGemm_xdl_cshuffle_v3INS_13tensor_layout4gemm8RowMajorENS3_11ColumnMajorES4_NS_9f8_fnuz_tENS_7pk_i4_tEfDF16_DF16_NS_16tensor_operation12element_wise11PassThroughESA_SA_LNS8_6device18GemmSpecializationE0ELi256ELi128ELi128ELi128ELi16ELi16ELi16ELi16ELi4ELi2ENS_8SequenceIJLi8ELi32ELi1EEEENSD_IJLi1ELi0ELi2EEEESF_Li2ELi16ELi16ELb0ELi0ENSD_IJLi4ELi64ELi1EEEESF_SF_Li2ELi16ELi16ELb0ELi0ELi1ELi1ENSD_IJLi1ELi32ELi1ELi8EEEELi4ELNS_26BlockGemmPipelineSchedulerE1ELNS_24BlockGemmPipelineVersionE1ES6_S6_Lb0ELb1ELb0ELi0ELb0EEELb1ELNS_25InMemoryDataOperationEnumE1ELi2ELNS_10TailNumberE10EEEvNT_8ArgumentE,comdat
	.protected	_ZN2ck27kernel_gemm_xdl_cshuffle_v3INS_28GridwiseGemm_xdl_cshuffle_v3INS_13tensor_layout4gemm8RowMajorENS3_11ColumnMajorES4_NS_9f8_fnuz_tENS_7pk_i4_tEfDF16_DF16_NS_16tensor_operation12element_wise11PassThroughESA_SA_LNS8_6device18GemmSpecializationE0ELi256ELi128ELi128ELi128ELi16ELi16ELi16ELi16ELi4ELi2ENS_8SequenceIJLi8ELi32ELi1EEEENSD_IJLi1ELi0ELi2EEEESF_Li2ELi16ELi16ELb0ELi0ENSD_IJLi4ELi64ELi1EEEESF_SF_Li2ELi16ELi16ELb0ELi0ELi1ELi1ENSD_IJLi1ELi32ELi1ELi8EEEELi4ELNS_26BlockGemmPipelineSchedulerE1ELNS_24BlockGemmPipelineVersionE1ES6_S6_Lb0ELb1ELb0ELi0ELb0EEELb1ELNS_25InMemoryDataOperationEnumE1ELi2ELNS_10TailNumberE10EEEvNT_8ArgumentE ; -- Begin function _ZN2ck27kernel_gemm_xdl_cshuffle_v3INS_28GridwiseGemm_xdl_cshuffle_v3INS_13tensor_layout4gemm8RowMajorENS3_11ColumnMajorES4_NS_9f8_fnuz_tENS_7pk_i4_tEfDF16_DF16_NS_16tensor_operation12element_wise11PassThroughESA_SA_LNS8_6device18GemmSpecializationE0ELi256ELi128ELi128ELi128ELi16ELi16ELi16ELi16ELi4ELi2ENS_8SequenceIJLi8ELi32ELi1EEEENSD_IJLi1ELi0ELi2EEEESF_Li2ELi16ELi16ELb0ELi0ENSD_IJLi4ELi64ELi1EEEESF_SF_Li2ELi16ELi16ELb0ELi0ELi1ELi1ENSD_IJLi1ELi32ELi1ELi8EEEELi4ELNS_26BlockGemmPipelineSchedulerE1ELNS_24BlockGemmPipelineVersionE1ES6_S6_Lb0ELb1ELb0ELi0ELb0EEELb1ELNS_25InMemoryDataOperationEnumE1ELi2ELNS_10TailNumberE10EEEvNT_8ArgumentE
	.globl	_ZN2ck27kernel_gemm_xdl_cshuffle_v3INS_28GridwiseGemm_xdl_cshuffle_v3INS_13tensor_layout4gemm8RowMajorENS3_11ColumnMajorES4_NS_9f8_fnuz_tENS_7pk_i4_tEfDF16_DF16_NS_16tensor_operation12element_wise11PassThroughESA_SA_LNS8_6device18GemmSpecializationE0ELi256ELi128ELi128ELi128ELi16ELi16ELi16ELi16ELi4ELi2ENS_8SequenceIJLi8ELi32ELi1EEEENSD_IJLi1ELi0ELi2EEEESF_Li2ELi16ELi16ELb0ELi0ENSD_IJLi4ELi64ELi1EEEESF_SF_Li2ELi16ELi16ELb0ELi0ELi1ELi1ENSD_IJLi1ELi32ELi1ELi8EEEELi4ELNS_26BlockGemmPipelineSchedulerE1ELNS_24BlockGemmPipelineVersionE1ES6_S6_Lb0ELb1ELb0ELi0ELb0EEELb1ELNS_25InMemoryDataOperationEnumE1ELi2ELNS_10TailNumberE10EEEvNT_8ArgumentE
	.p2align	8
	.type	_ZN2ck27kernel_gemm_xdl_cshuffle_v3INS_28GridwiseGemm_xdl_cshuffle_v3INS_13tensor_layout4gemm8RowMajorENS3_11ColumnMajorES4_NS_9f8_fnuz_tENS_7pk_i4_tEfDF16_DF16_NS_16tensor_operation12element_wise11PassThroughESA_SA_LNS8_6device18GemmSpecializationE0ELi256ELi128ELi128ELi128ELi16ELi16ELi16ELi16ELi4ELi2ENS_8SequenceIJLi8ELi32ELi1EEEENSD_IJLi1ELi0ELi2EEEESF_Li2ELi16ELi16ELb0ELi0ENSD_IJLi4ELi64ELi1EEEESF_SF_Li2ELi16ELi16ELb0ELi0ELi1ELi1ENSD_IJLi1ELi32ELi1ELi8EEEELi4ELNS_26BlockGemmPipelineSchedulerE1ELNS_24BlockGemmPipelineVersionE1ES6_S6_Lb0ELb1ELb0ELi0ELb0EEELb1ELNS_25InMemoryDataOperationEnumE1ELi2ELNS_10TailNumberE10EEEvNT_8ArgumentE,@function
_ZN2ck27kernel_gemm_xdl_cshuffle_v3INS_28GridwiseGemm_xdl_cshuffle_v3INS_13tensor_layout4gemm8RowMajorENS3_11ColumnMajorES4_NS_9f8_fnuz_tENS_7pk_i4_tEfDF16_DF16_NS_16tensor_operation12element_wise11PassThroughESA_SA_LNS8_6device18GemmSpecializationE0ELi256ELi128ELi128ELi128ELi16ELi16ELi16ELi16ELi4ELi2ENS_8SequenceIJLi8ELi32ELi1EEEENSD_IJLi1ELi0ELi2EEEESF_Li2ELi16ELi16ELb0ELi0ENSD_IJLi4ELi64ELi1EEEESF_SF_Li2ELi16ELi16ELb0ELi0ELi1ELi1ENSD_IJLi1ELi32ELi1ELi8EEEELi4ELNS_26BlockGemmPipelineSchedulerE1ELNS_24BlockGemmPipelineVersionE1ES6_S6_Lb0ELb1ELb0ELi0ELb0EEELb1ELNS_25InMemoryDataOperationEnumE1ELi2ELNS_10TailNumberE10EEEvNT_8ArgumentE: ; @_ZN2ck27kernel_gemm_xdl_cshuffle_v3INS_28GridwiseGemm_xdl_cshuffle_v3INS_13tensor_layout4gemm8RowMajorENS3_11ColumnMajorES4_NS_9f8_fnuz_tENS_7pk_i4_tEfDF16_DF16_NS_16tensor_operation12element_wise11PassThroughESA_SA_LNS8_6device18GemmSpecializationE0ELi256ELi128ELi128ELi128ELi16ELi16ELi16ELi16ELi4ELi2ENS_8SequenceIJLi8ELi32ELi1EEEENSD_IJLi1ELi0ELi2EEEESF_Li2ELi16ELi16ELb0ELi0ENSD_IJLi4ELi64ELi1EEEESF_SF_Li2ELi16ELi16ELb0ELi0ELi1ELi1ENSD_IJLi1ELi32ELi1ELi8EEEELi4ELNS_26BlockGemmPipelineSchedulerE1ELNS_24BlockGemmPipelineVersionE1ES6_S6_Lb0ELb1ELb0ELi0ELb0EEELb1ELNS_25InMemoryDataOperationEnumE1ELi2ELNS_10TailNumberE10EEEvNT_8ArgumentE
; %bb.0:
	s_endpgm
	.section	.rodata,"a",@progbits
	.p2align	6, 0x0
	.amdhsa_kernel _ZN2ck27kernel_gemm_xdl_cshuffle_v3INS_28GridwiseGemm_xdl_cshuffle_v3INS_13tensor_layout4gemm8RowMajorENS3_11ColumnMajorES4_NS_9f8_fnuz_tENS_7pk_i4_tEfDF16_DF16_NS_16tensor_operation12element_wise11PassThroughESA_SA_LNS8_6device18GemmSpecializationE0ELi256ELi128ELi128ELi128ELi16ELi16ELi16ELi16ELi4ELi2ENS_8SequenceIJLi8ELi32ELi1EEEENSD_IJLi1ELi0ELi2EEEESF_Li2ELi16ELi16ELb0ELi0ENSD_IJLi4ELi64ELi1EEEESF_SF_Li2ELi16ELi16ELb0ELi0ELi1ELi1ENSD_IJLi1ELi32ELi1ELi8EEEELi4ELNS_26BlockGemmPipelineSchedulerE1ELNS_24BlockGemmPipelineVersionE1ES6_S6_Lb0ELb1ELb0ELi0ELb0EEELb1ELNS_25InMemoryDataOperationEnumE1ELi2ELNS_10TailNumberE10EEEvNT_8ArgumentE
		.amdhsa_group_segment_fixed_size 0
		.amdhsa_private_segment_fixed_size 0
		.amdhsa_kernarg_size 112
		.amdhsa_user_sgpr_count 2
		.amdhsa_user_sgpr_dispatch_ptr 0
		.amdhsa_user_sgpr_queue_ptr 0
		.amdhsa_user_sgpr_kernarg_segment_ptr 1
		.amdhsa_user_sgpr_dispatch_id 0
		.amdhsa_user_sgpr_kernarg_preload_length 0
		.amdhsa_user_sgpr_kernarg_preload_offset 0
		.amdhsa_user_sgpr_private_segment_size 0
		.amdhsa_uses_dynamic_stack 0
		.amdhsa_enable_private_segment 0
		.amdhsa_system_sgpr_workgroup_id_x 1
		.amdhsa_system_sgpr_workgroup_id_y 0
		.amdhsa_system_sgpr_workgroup_id_z 0
		.amdhsa_system_sgpr_workgroup_info 0
		.amdhsa_system_vgpr_workitem_id 0
		.amdhsa_next_free_vgpr 1
		.amdhsa_next_free_sgpr 0
		.amdhsa_accum_offset 4
		.amdhsa_reserve_vcc 0
		.amdhsa_float_round_mode_32 0
		.amdhsa_float_round_mode_16_64 0
		.amdhsa_float_denorm_mode_32 3
		.amdhsa_float_denorm_mode_16_64 3
		.amdhsa_dx10_clamp 1
		.amdhsa_ieee_mode 1
		.amdhsa_fp16_overflow 0
		.amdhsa_tg_split 0
		.amdhsa_exception_fp_ieee_invalid_op 0
		.amdhsa_exception_fp_denorm_src 0
		.amdhsa_exception_fp_ieee_div_zero 0
		.amdhsa_exception_fp_ieee_overflow 0
		.amdhsa_exception_fp_ieee_underflow 0
		.amdhsa_exception_fp_ieee_inexact 0
		.amdhsa_exception_int_div_zero 0
	.end_amdhsa_kernel
	.section	.text._ZN2ck27kernel_gemm_xdl_cshuffle_v3INS_28GridwiseGemm_xdl_cshuffle_v3INS_13tensor_layout4gemm8RowMajorENS3_11ColumnMajorES4_NS_9f8_fnuz_tENS_7pk_i4_tEfDF16_DF16_NS_16tensor_operation12element_wise11PassThroughESA_SA_LNS8_6device18GemmSpecializationE0ELi256ELi128ELi128ELi128ELi16ELi16ELi16ELi16ELi4ELi2ENS_8SequenceIJLi8ELi32ELi1EEEENSD_IJLi1ELi0ELi2EEEESF_Li2ELi16ELi16ELb0ELi0ENSD_IJLi4ELi64ELi1EEEESF_SF_Li2ELi16ELi16ELb0ELi0ELi1ELi1ENSD_IJLi1ELi32ELi1ELi8EEEELi4ELNS_26BlockGemmPipelineSchedulerE1ELNS_24BlockGemmPipelineVersionE1ES6_S6_Lb0ELb1ELb0ELi0ELb0EEELb1ELNS_25InMemoryDataOperationEnumE1ELi2ELNS_10TailNumberE10EEEvNT_8ArgumentE,"axG",@progbits,_ZN2ck27kernel_gemm_xdl_cshuffle_v3INS_28GridwiseGemm_xdl_cshuffle_v3INS_13tensor_layout4gemm8RowMajorENS3_11ColumnMajorES4_NS_9f8_fnuz_tENS_7pk_i4_tEfDF16_DF16_NS_16tensor_operation12element_wise11PassThroughESA_SA_LNS8_6device18GemmSpecializationE0ELi256ELi128ELi128ELi128ELi16ELi16ELi16ELi16ELi4ELi2ENS_8SequenceIJLi8ELi32ELi1EEEENSD_IJLi1ELi0ELi2EEEESF_Li2ELi16ELi16ELb0ELi0ENSD_IJLi4ELi64ELi1EEEESF_SF_Li2ELi16ELi16ELb0ELi0ELi1ELi1ENSD_IJLi1ELi32ELi1ELi8EEEELi4ELNS_26BlockGemmPipelineSchedulerE1ELNS_24BlockGemmPipelineVersionE1ES6_S6_Lb0ELb1ELb0ELi0ELb0EEELb1ELNS_25InMemoryDataOperationEnumE1ELi2ELNS_10TailNumberE10EEEvNT_8ArgumentE,comdat
.Lfunc_end6:
	.size	_ZN2ck27kernel_gemm_xdl_cshuffle_v3INS_28GridwiseGemm_xdl_cshuffle_v3INS_13tensor_layout4gemm8RowMajorENS3_11ColumnMajorES4_NS_9f8_fnuz_tENS_7pk_i4_tEfDF16_DF16_NS_16tensor_operation12element_wise11PassThroughESA_SA_LNS8_6device18GemmSpecializationE0ELi256ELi128ELi128ELi128ELi16ELi16ELi16ELi16ELi4ELi2ENS_8SequenceIJLi8ELi32ELi1EEEENSD_IJLi1ELi0ELi2EEEESF_Li2ELi16ELi16ELb0ELi0ENSD_IJLi4ELi64ELi1EEEESF_SF_Li2ELi16ELi16ELb0ELi0ELi1ELi1ENSD_IJLi1ELi32ELi1ELi8EEEELi4ELNS_26BlockGemmPipelineSchedulerE1ELNS_24BlockGemmPipelineVersionE1ES6_S6_Lb0ELb1ELb0ELi0ELb0EEELb1ELNS_25InMemoryDataOperationEnumE1ELi2ELNS_10TailNumberE10EEEvNT_8ArgumentE, .Lfunc_end6-_ZN2ck27kernel_gemm_xdl_cshuffle_v3INS_28GridwiseGemm_xdl_cshuffle_v3INS_13tensor_layout4gemm8RowMajorENS3_11ColumnMajorES4_NS_9f8_fnuz_tENS_7pk_i4_tEfDF16_DF16_NS_16tensor_operation12element_wise11PassThroughESA_SA_LNS8_6device18GemmSpecializationE0ELi256ELi128ELi128ELi128ELi16ELi16ELi16ELi16ELi4ELi2ENS_8SequenceIJLi8ELi32ELi1EEEENSD_IJLi1ELi0ELi2EEEESF_Li2ELi16ELi16ELb0ELi0ENSD_IJLi4ELi64ELi1EEEESF_SF_Li2ELi16ELi16ELb0ELi0ELi1ELi1ENSD_IJLi1ELi32ELi1ELi8EEEELi4ELNS_26BlockGemmPipelineSchedulerE1ELNS_24BlockGemmPipelineVersionE1ES6_S6_Lb0ELb1ELb0ELi0ELb0EEELb1ELNS_25InMemoryDataOperationEnumE1ELi2ELNS_10TailNumberE10EEEvNT_8ArgumentE
                                        ; -- End function
	.set _ZN2ck27kernel_gemm_xdl_cshuffle_v3INS_28GridwiseGemm_xdl_cshuffle_v3INS_13tensor_layout4gemm8RowMajorENS3_11ColumnMajorES4_NS_9f8_fnuz_tENS_7pk_i4_tEfDF16_DF16_NS_16tensor_operation12element_wise11PassThroughESA_SA_LNS8_6device18GemmSpecializationE0ELi256ELi128ELi128ELi128ELi16ELi16ELi16ELi16ELi4ELi2ENS_8SequenceIJLi8ELi32ELi1EEEENSD_IJLi1ELi0ELi2EEEESF_Li2ELi16ELi16ELb0ELi0ENSD_IJLi4ELi64ELi1EEEESF_SF_Li2ELi16ELi16ELb0ELi0ELi1ELi1ENSD_IJLi1ELi32ELi1ELi8EEEELi4ELNS_26BlockGemmPipelineSchedulerE1ELNS_24BlockGemmPipelineVersionE1ES6_S6_Lb0ELb1ELb0ELi0ELb0EEELb1ELNS_25InMemoryDataOperationEnumE1ELi2ELNS_10TailNumberE10EEEvNT_8ArgumentE.num_vgpr, 0
	.set _ZN2ck27kernel_gemm_xdl_cshuffle_v3INS_28GridwiseGemm_xdl_cshuffle_v3INS_13tensor_layout4gemm8RowMajorENS3_11ColumnMajorES4_NS_9f8_fnuz_tENS_7pk_i4_tEfDF16_DF16_NS_16tensor_operation12element_wise11PassThroughESA_SA_LNS8_6device18GemmSpecializationE0ELi256ELi128ELi128ELi128ELi16ELi16ELi16ELi16ELi4ELi2ENS_8SequenceIJLi8ELi32ELi1EEEENSD_IJLi1ELi0ELi2EEEESF_Li2ELi16ELi16ELb0ELi0ENSD_IJLi4ELi64ELi1EEEESF_SF_Li2ELi16ELi16ELb0ELi0ELi1ELi1ENSD_IJLi1ELi32ELi1ELi8EEEELi4ELNS_26BlockGemmPipelineSchedulerE1ELNS_24BlockGemmPipelineVersionE1ES6_S6_Lb0ELb1ELb0ELi0ELb0EEELb1ELNS_25InMemoryDataOperationEnumE1ELi2ELNS_10TailNumberE10EEEvNT_8ArgumentE.num_agpr, 0
	.set _ZN2ck27kernel_gemm_xdl_cshuffle_v3INS_28GridwiseGemm_xdl_cshuffle_v3INS_13tensor_layout4gemm8RowMajorENS3_11ColumnMajorES4_NS_9f8_fnuz_tENS_7pk_i4_tEfDF16_DF16_NS_16tensor_operation12element_wise11PassThroughESA_SA_LNS8_6device18GemmSpecializationE0ELi256ELi128ELi128ELi128ELi16ELi16ELi16ELi16ELi4ELi2ENS_8SequenceIJLi8ELi32ELi1EEEENSD_IJLi1ELi0ELi2EEEESF_Li2ELi16ELi16ELb0ELi0ENSD_IJLi4ELi64ELi1EEEESF_SF_Li2ELi16ELi16ELb0ELi0ELi1ELi1ENSD_IJLi1ELi32ELi1ELi8EEEELi4ELNS_26BlockGemmPipelineSchedulerE1ELNS_24BlockGemmPipelineVersionE1ES6_S6_Lb0ELb1ELb0ELi0ELb0EEELb1ELNS_25InMemoryDataOperationEnumE1ELi2ELNS_10TailNumberE10EEEvNT_8ArgumentE.numbered_sgpr, 0
	.set _ZN2ck27kernel_gemm_xdl_cshuffle_v3INS_28GridwiseGemm_xdl_cshuffle_v3INS_13tensor_layout4gemm8RowMajorENS3_11ColumnMajorES4_NS_9f8_fnuz_tENS_7pk_i4_tEfDF16_DF16_NS_16tensor_operation12element_wise11PassThroughESA_SA_LNS8_6device18GemmSpecializationE0ELi256ELi128ELi128ELi128ELi16ELi16ELi16ELi16ELi4ELi2ENS_8SequenceIJLi8ELi32ELi1EEEENSD_IJLi1ELi0ELi2EEEESF_Li2ELi16ELi16ELb0ELi0ENSD_IJLi4ELi64ELi1EEEESF_SF_Li2ELi16ELi16ELb0ELi0ELi1ELi1ENSD_IJLi1ELi32ELi1ELi8EEEELi4ELNS_26BlockGemmPipelineSchedulerE1ELNS_24BlockGemmPipelineVersionE1ES6_S6_Lb0ELb1ELb0ELi0ELb0EEELb1ELNS_25InMemoryDataOperationEnumE1ELi2ELNS_10TailNumberE10EEEvNT_8ArgumentE.num_named_barrier, 0
	.set _ZN2ck27kernel_gemm_xdl_cshuffle_v3INS_28GridwiseGemm_xdl_cshuffle_v3INS_13tensor_layout4gemm8RowMajorENS3_11ColumnMajorES4_NS_9f8_fnuz_tENS_7pk_i4_tEfDF16_DF16_NS_16tensor_operation12element_wise11PassThroughESA_SA_LNS8_6device18GemmSpecializationE0ELi256ELi128ELi128ELi128ELi16ELi16ELi16ELi16ELi4ELi2ENS_8SequenceIJLi8ELi32ELi1EEEENSD_IJLi1ELi0ELi2EEEESF_Li2ELi16ELi16ELb0ELi0ENSD_IJLi4ELi64ELi1EEEESF_SF_Li2ELi16ELi16ELb0ELi0ELi1ELi1ENSD_IJLi1ELi32ELi1ELi8EEEELi4ELNS_26BlockGemmPipelineSchedulerE1ELNS_24BlockGemmPipelineVersionE1ES6_S6_Lb0ELb1ELb0ELi0ELb0EEELb1ELNS_25InMemoryDataOperationEnumE1ELi2ELNS_10TailNumberE10EEEvNT_8ArgumentE.private_seg_size, 0
	.set _ZN2ck27kernel_gemm_xdl_cshuffle_v3INS_28GridwiseGemm_xdl_cshuffle_v3INS_13tensor_layout4gemm8RowMajorENS3_11ColumnMajorES4_NS_9f8_fnuz_tENS_7pk_i4_tEfDF16_DF16_NS_16tensor_operation12element_wise11PassThroughESA_SA_LNS8_6device18GemmSpecializationE0ELi256ELi128ELi128ELi128ELi16ELi16ELi16ELi16ELi4ELi2ENS_8SequenceIJLi8ELi32ELi1EEEENSD_IJLi1ELi0ELi2EEEESF_Li2ELi16ELi16ELb0ELi0ENSD_IJLi4ELi64ELi1EEEESF_SF_Li2ELi16ELi16ELb0ELi0ELi1ELi1ENSD_IJLi1ELi32ELi1ELi8EEEELi4ELNS_26BlockGemmPipelineSchedulerE1ELNS_24BlockGemmPipelineVersionE1ES6_S6_Lb0ELb1ELb0ELi0ELb0EEELb1ELNS_25InMemoryDataOperationEnumE1ELi2ELNS_10TailNumberE10EEEvNT_8ArgumentE.uses_vcc, 0
	.set _ZN2ck27kernel_gemm_xdl_cshuffle_v3INS_28GridwiseGemm_xdl_cshuffle_v3INS_13tensor_layout4gemm8RowMajorENS3_11ColumnMajorES4_NS_9f8_fnuz_tENS_7pk_i4_tEfDF16_DF16_NS_16tensor_operation12element_wise11PassThroughESA_SA_LNS8_6device18GemmSpecializationE0ELi256ELi128ELi128ELi128ELi16ELi16ELi16ELi16ELi4ELi2ENS_8SequenceIJLi8ELi32ELi1EEEENSD_IJLi1ELi0ELi2EEEESF_Li2ELi16ELi16ELb0ELi0ENSD_IJLi4ELi64ELi1EEEESF_SF_Li2ELi16ELi16ELb0ELi0ELi1ELi1ENSD_IJLi1ELi32ELi1ELi8EEEELi4ELNS_26BlockGemmPipelineSchedulerE1ELNS_24BlockGemmPipelineVersionE1ES6_S6_Lb0ELb1ELb0ELi0ELb0EEELb1ELNS_25InMemoryDataOperationEnumE1ELi2ELNS_10TailNumberE10EEEvNT_8ArgumentE.uses_flat_scratch, 0
	.set _ZN2ck27kernel_gemm_xdl_cshuffle_v3INS_28GridwiseGemm_xdl_cshuffle_v3INS_13tensor_layout4gemm8RowMajorENS3_11ColumnMajorES4_NS_9f8_fnuz_tENS_7pk_i4_tEfDF16_DF16_NS_16tensor_operation12element_wise11PassThroughESA_SA_LNS8_6device18GemmSpecializationE0ELi256ELi128ELi128ELi128ELi16ELi16ELi16ELi16ELi4ELi2ENS_8SequenceIJLi8ELi32ELi1EEEENSD_IJLi1ELi0ELi2EEEESF_Li2ELi16ELi16ELb0ELi0ENSD_IJLi4ELi64ELi1EEEESF_SF_Li2ELi16ELi16ELb0ELi0ELi1ELi1ENSD_IJLi1ELi32ELi1ELi8EEEELi4ELNS_26BlockGemmPipelineSchedulerE1ELNS_24BlockGemmPipelineVersionE1ES6_S6_Lb0ELb1ELb0ELi0ELb0EEELb1ELNS_25InMemoryDataOperationEnumE1ELi2ELNS_10TailNumberE10EEEvNT_8ArgumentE.has_dyn_sized_stack, 0
	.set _ZN2ck27kernel_gemm_xdl_cshuffle_v3INS_28GridwiseGemm_xdl_cshuffle_v3INS_13tensor_layout4gemm8RowMajorENS3_11ColumnMajorES4_NS_9f8_fnuz_tENS_7pk_i4_tEfDF16_DF16_NS_16tensor_operation12element_wise11PassThroughESA_SA_LNS8_6device18GemmSpecializationE0ELi256ELi128ELi128ELi128ELi16ELi16ELi16ELi16ELi4ELi2ENS_8SequenceIJLi8ELi32ELi1EEEENSD_IJLi1ELi0ELi2EEEESF_Li2ELi16ELi16ELb0ELi0ENSD_IJLi4ELi64ELi1EEEESF_SF_Li2ELi16ELi16ELb0ELi0ELi1ELi1ENSD_IJLi1ELi32ELi1ELi8EEEELi4ELNS_26BlockGemmPipelineSchedulerE1ELNS_24BlockGemmPipelineVersionE1ES6_S6_Lb0ELb1ELb0ELi0ELb0EEELb1ELNS_25InMemoryDataOperationEnumE1ELi2ELNS_10TailNumberE10EEEvNT_8ArgumentE.has_recursion, 0
	.set _ZN2ck27kernel_gemm_xdl_cshuffle_v3INS_28GridwiseGemm_xdl_cshuffle_v3INS_13tensor_layout4gemm8RowMajorENS3_11ColumnMajorES4_NS_9f8_fnuz_tENS_7pk_i4_tEfDF16_DF16_NS_16tensor_operation12element_wise11PassThroughESA_SA_LNS8_6device18GemmSpecializationE0ELi256ELi128ELi128ELi128ELi16ELi16ELi16ELi16ELi4ELi2ENS_8SequenceIJLi8ELi32ELi1EEEENSD_IJLi1ELi0ELi2EEEESF_Li2ELi16ELi16ELb0ELi0ENSD_IJLi4ELi64ELi1EEEESF_SF_Li2ELi16ELi16ELb0ELi0ELi1ELi1ENSD_IJLi1ELi32ELi1ELi8EEEELi4ELNS_26BlockGemmPipelineSchedulerE1ELNS_24BlockGemmPipelineVersionE1ES6_S6_Lb0ELb1ELb0ELi0ELb0EEELb1ELNS_25InMemoryDataOperationEnumE1ELi2ELNS_10TailNumberE10EEEvNT_8ArgumentE.has_indirect_call, 0
	.section	.AMDGPU.csdata,"",@progbits
; Kernel info:
; codeLenInByte = 4
; TotalNumSgprs: 6
; NumVgprs: 0
; NumAgprs: 0
; TotalNumVgprs: 0
; ScratchSize: 0
; MemoryBound: 0
; FloatMode: 240
; IeeeMode: 1
; LDSByteSize: 0 bytes/workgroup (compile time only)
; SGPRBlocks: 0
; VGPRBlocks: 0
; NumSGPRsForWavesPerEU: 6
; NumVGPRsForWavesPerEU: 1
; AccumOffset: 4
; Occupancy: 8
; WaveLimiterHint : 0
; COMPUTE_PGM_RSRC2:SCRATCH_EN: 0
; COMPUTE_PGM_RSRC2:USER_SGPR: 2
; COMPUTE_PGM_RSRC2:TRAP_HANDLER: 0
; COMPUTE_PGM_RSRC2:TGID_X_EN: 1
; COMPUTE_PGM_RSRC2:TGID_Y_EN: 0
; COMPUTE_PGM_RSRC2:TGID_Z_EN: 0
; COMPUTE_PGM_RSRC2:TIDIG_COMP_CNT: 0
; COMPUTE_PGM_RSRC3_GFX90A:ACCUM_OFFSET: 0
; COMPUTE_PGM_RSRC3_GFX90A:TG_SPLIT: 0
	.section	.text._ZN2ck27kernel_gemm_xdl_cshuffle_v3INS_28GridwiseGemm_xdl_cshuffle_v3INS_13tensor_layout4gemm8RowMajorENS3_11ColumnMajorES4_NS_9f8_fnuz_tENS_7pk_i4_tEfDF16_DF16_NS_16tensor_operation12element_wise11PassThroughESA_SA_LNS8_6device18GemmSpecializationE0ELi256ELi128ELi128ELi128ELi16ELi16ELi16ELi16ELi4ELi2ENS_8SequenceIJLi8ELi32ELi1EEEENSD_IJLi1ELi0ELi2EEEESF_Li2ELi16ELi16ELb0ELi0ENSD_IJLi4ELi64ELi1EEEESF_SF_Li2ELi16ELi16ELb0ELi0ELi1ELi1ENSD_IJLi1ELi32ELi1ELi8EEEELi4ELNS_26BlockGemmPipelineSchedulerE1ELNS_24BlockGemmPipelineVersionE1ES6_S6_Lb0ELb1ELb0ELi0ELb0EEELb1ELNS_25InMemoryDataOperationEnumE0ELi2ELNS_10TailNumberE2EEEvNT_8ArgumentE,"axG",@progbits,_ZN2ck27kernel_gemm_xdl_cshuffle_v3INS_28GridwiseGemm_xdl_cshuffle_v3INS_13tensor_layout4gemm8RowMajorENS3_11ColumnMajorES4_NS_9f8_fnuz_tENS_7pk_i4_tEfDF16_DF16_NS_16tensor_operation12element_wise11PassThroughESA_SA_LNS8_6device18GemmSpecializationE0ELi256ELi128ELi128ELi128ELi16ELi16ELi16ELi16ELi4ELi2ENS_8SequenceIJLi8ELi32ELi1EEEENSD_IJLi1ELi0ELi2EEEESF_Li2ELi16ELi16ELb0ELi0ENSD_IJLi4ELi64ELi1EEEESF_SF_Li2ELi16ELi16ELb0ELi0ELi1ELi1ENSD_IJLi1ELi32ELi1ELi8EEEELi4ELNS_26BlockGemmPipelineSchedulerE1ELNS_24BlockGemmPipelineVersionE1ES6_S6_Lb0ELb1ELb0ELi0ELb0EEELb1ELNS_25InMemoryDataOperationEnumE0ELi2ELNS_10TailNumberE2EEEvNT_8ArgumentE,comdat
	.protected	_ZN2ck27kernel_gemm_xdl_cshuffle_v3INS_28GridwiseGemm_xdl_cshuffle_v3INS_13tensor_layout4gemm8RowMajorENS3_11ColumnMajorES4_NS_9f8_fnuz_tENS_7pk_i4_tEfDF16_DF16_NS_16tensor_operation12element_wise11PassThroughESA_SA_LNS8_6device18GemmSpecializationE0ELi256ELi128ELi128ELi128ELi16ELi16ELi16ELi16ELi4ELi2ENS_8SequenceIJLi8ELi32ELi1EEEENSD_IJLi1ELi0ELi2EEEESF_Li2ELi16ELi16ELb0ELi0ENSD_IJLi4ELi64ELi1EEEESF_SF_Li2ELi16ELi16ELb0ELi0ELi1ELi1ENSD_IJLi1ELi32ELi1ELi8EEEELi4ELNS_26BlockGemmPipelineSchedulerE1ELNS_24BlockGemmPipelineVersionE1ES6_S6_Lb0ELb1ELb0ELi0ELb0EEELb1ELNS_25InMemoryDataOperationEnumE0ELi2ELNS_10TailNumberE2EEEvNT_8ArgumentE ; -- Begin function _ZN2ck27kernel_gemm_xdl_cshuffle_v3INS_28GridwiseGemm_xdl_cshuffle_v3INS_13tensor_layout4gemm8RowMajorENS3_11ColumnMajorES4_NS_9f8_fnuz_tENS_7pk_i4_tEfDF16_DF16_NS_16tensor_operation12element_wise11PassThroughESA_SA_LNS8_6device18GemmSpecializationE0ELi256ELi128ELi128ELi128ELi16ELi16ELi16ELi16ELi4ELi2ENS_8SequenceIJLi8ELi32ELi1EEEENSD_IJLi1ELi0ELi2EEEESF_Li2ELi16ELi16ELb0ELi0ENSD_IJLi4ELi64ELi1EEEESF_SF_Li2ELi16ELi16ELb0ELi0ELi1ELi1ENSD_IJLi1ELi32ELi1ELi8EEEELi4ELNS_26BlockGemmPipelineSchedulerE1ELNS_24BlockGemmPipelineVersionE1ES6_S6_Lb0ELb1ELb0ELi0ELb0EEELb1ELNS_25InMemoryDataOperationEnumE0ELi2ELNS_10TailNumberE2EEEvNT_8ArgumentE
	.globl	_ZN2ck27kernel_gemm_xdl_cshuffle_v3INS_28GridwiseGemm_xdl_cshuffle_v3INS_13tensor_layout4gemm8RowMajorENS3_11ColumnMajorES4_NS_9f8_fnuz_tENS_7pk_i4_tEfDF16_DF16_NS_16tensor_operation12element_wise11PassThroughESA_SA_LNS8_6device18GemmSpecializationE0ELi256ELi128ELi128ELi128ELi16ELi16ELi16ELi16ELi4ELi2ENS_8SequenceIJLi8ELi32ELi1EEEENSD_IJLi1ELi0ELi2EEEESF_Li2ELi16ELi16ELb0ELi0ENSD_IJLi4ELi64ELi1EEEESF_SF_Li2ELi16ELi16ELb0ELi0ELi1ELi1ENSD_IJLi1ELi32ELi1ELi8EEEELi4ELNS_26BlockGemmPipelineSchedulerE1ELNS_24BlockGemmPipelineVersionE1ES6_S6_Lb0ELb1ELb0ELi0ELb0EEELb1ELNS_25InMemoryDataOperationEnumE0ELi2ELNS_10TailNumberE2EEEvNT_8ArgumentE
	.p2align	8
	.type	_ZN2ck27kernel_gemm_xdl_cshuffle_v3INS_28GridwiseGemm_xdl_cshuffle_v3INS_13tensor_layout4gemm8RowMajorENS3_11ColumnMajorES4_NS_9f8_fnuz_tENS_7pk_i4_tEfDF16_DF16_NS_16tensor_operation12element_wise11PassThroughESA_SA_LNS8_6device18GemmSpecializationE0ELi256ELi128ELi128ELi128ELi16ELi16ELi16ELi16ELi4ELi2ENS_8SequenceIJLi8ELi32ELi1EEEENSD_IJLi1ELi0ELi2EEEESF_Li2ELi16ELi16ELb0ELi0ENSD_IJLi4ELi64ELi1EEEESF_SF_Li2ELi16ELi16ELb0ELi0ELi1ELi1ENSD_IJLi1ELi32ELi1ELi8EEEELi4ELNS_26BlockGemmPipelineSchedulerE1ELNS_24BlockGemmPipelineVersionE1ES6_S6_Lb0ELb1ELb0ELi0ELb0EEELb1ELNS_25InMemoryDataOperationEnumE0ELi2ELNS_10TailNumberE2EEEvNT_8ArgumentE,@function
_ZN2ck27kernel_gemm_xdl_cshuffle_v3INS_28GridwiseGemm_xdl_cshuffle_v3INS_13tensor_layout4gemm8RowMajorENS3_11ColumnMajorES4_NS_9f8_fnuz_tENS_7pk_i4_tEfDF16_DF16_NS_16tensor_operation12element_wise11PassThroughESA_SA_LNS8_6device18GemmSpecializationE0ELi256ELi128ELi128ELi128ELi16ELi16ELi16ELi16ELi4ELi2ENS_8SequenceIJLi8ELi32ELi1EEEENSD_IJLi1ELi0ELi2EEEESF_Li2ELi16ELi16ELb0ELi0ENSD_IJLi4ELi64ELi1EEEESF_SF_Li2ELi16ELi16ELb0ELi0ELi1ELi1ENSD_IJLi1ELi32ELi1ELi8EEEELi4ELNS_26BlockGemmPipelineSchedulerE1ELNS_24BlockGemmPipelineVersionE1ES6_S6_Lb0ELb1ELb0ELi0ELb0EEELb1ELNS_25InMemoryDataOperationEnumE0ELi2ELNS_10TailNumberE2EEEvNT_8ArgumentE: ; @_ZN2ck27kernel_gemm_xdl_cshuffle_v3INS_28GridwiseGemm_xdl_cshuffle_v3INS_13tensor_layout4gemm8RowMajorENS3_11ColumnMajorES4_NS_9f8_fnuz_tENS_7pk_i4_tEfDF16_DF16_NS_16tensor_operation12element_wise11PassThroughESA_SA_LNS8_6device18GemmSpecializationE0ELi256ELi128ELi128ELi128ELi16ELi16ELi16ELi16ELi4ELi2ENS_8SequenceIJLi8ELi32ELi1EEEENSD_IJLi1ELi0ELi2EEEESF_Li2ELi16ELi16ELb0ELi0ENSD_IJLi4ELi64ELi1EEEESF_SF_Li2ELi16ELi16ELb0ELi0ELi1ELi1ENSD_IJLi1ELi32ELi1ELi8EEEELi4ELNS_26BlockGemmPipelineSchedulerE1ELNS_24BlockGemmPipelineVersionE1ES6_S6_Lb0ELb1ELb0ELi0ELb0EEELb1ELNS_25InMemoryDataOperationEnumE0ELi2ELNS_10TailNumberE2EEEvNT_8ArgumentE
; %bb.0:
	s_endpgm
	.section	.rodata,"a",@progbits
	.p2align	6, 0x0
	.amdhsa_kernel _ZN2ck27kernel_gemm_xdl_cshuffle_v3INS_28GridwiseGemm_xdl_cshuffle_v3INS_13tensor_layout4gemm8RowMajorENS3_11ColumnMajorES4_NS_9f8_fnuz_tENS_7pk_i4_tEfDF16_DF16_NS_16tensor_operation12element_wise11PassThroughESA_SA_LNS8_6device18GemmSpecializationE0ELi256ELi128ELi128ELi128ELi16ELi16ELi16ELi16ELi4ELi2ENS_8SequenceIJLi8ELi32ELi1EEEENSD_IJLi1ELi0ELi2EEEESF_Li2ELi16ELi16ELb0ELi0ENSD_IJLi4ELi64ELi1EEEESF_SF_Li2ELi16ELi16ELb0ELi0ELi1ELi1ENSD_IJLi1ELi32ELi1ELi8EEEELi4ELNS_26BlockGemmPipelineSchedulerE1ELNS_24BlockGemmPipelineVersionE1ES6_S6_Lb0ELb1ELb0ELi0ELb0EEELb1ELNS_25InMemoryDataOperationEnumE0ELi2ELNS_10TailNumberE2EEEvNT_8ArgumentE
		.amdhsa_group_segment_fixed_size 0
		.amdhsa_private_segment_fixed_size 0
		.amdhsa_kernarg_size 112
		.amdhsa_user_sgpr_count 2
		.amdhsa_user_sgpr_dispatch_ptr 0
		.amdhsa_user_sgpr_queue_ptr 0
		.amdhsa_user_sgpr_kernarg_segment_ptr 1
		.amdhsa_user_sgpr_dispatch_id 0
		.amdhsa_user_sgpr_kernarg_preload_length 0
		.amdhsa_user_sgpr_kernarg_preload_offset 0
		.amdhsa_user_sgpr_private_segment_size 0
		.amdhsa_uses_dynamic_stack 0
		.amdhsa_enable_private_segment 0
		.amdhsa_system_sgpr_workgroup_id_x 1
		.amdhsa_system_sgpr_workgroup_id_y 0
		.amdhsa_system_sgpr_workgroup_id_z 0
		.amdhsa_system_sgpr_workgroup_info 0
		.amdhsa_system_vgpr_workitem_id 0
		.amdhsa_next_free_vgpr 1
		.amdhsa_next_free_sgpr 0
		.amdhsa_accum_offset 4
		.amdhsa_reserve_vcc 0
		.amdhsa_float_round_mode_32 0
		.amdhsa_float_round_mode_16_64 0
		.amdhsa_float_denorm_mode_32 3
		.amdhsa_float_denorm_mode_16_64 3
		.amdhsa_dx10_clamp 1
		.amdhsa_ieee_mode 1
		.amdhsa_fp16_overflow 0
		.amdhsa_tg_split 0
		.amdhsa_exception_fp_ieee_invalid_op 0
		.amdhsa_exception_fp_denorm_src 0
		.amdhsa_exception_fp_ieee_div_zero 0
		.amdhsa_exception_fp_ieee_overflow 0
		.amdhsa_exception_fp_ieee_underflow 0
		.amdhsa_exception_fp_ieee_inexact 0
		.amdhsa_exception_int_div_zero 0
	.end_amdhsa_kernel
	.section	.text._ZN2ck27kernel_gemm_xdl_cshuffle_v3INS_28GridwiseGemm_xdl_cshuffle_v3INS_13tensor_layout4gemm8RowMajorENS3_11ColumnMajorES4_NS_9f8_fnuz_tENS_7pk_i4_tEfDF16_DF16_NS_16tensor_operation12element_wise11PassThroughESA_SA_LNS8_6device18GemmSpecializationE0ELi256ELi128ELi128ELi128ELi16ELi16ELi16ELi16ELi4ELi2ENS_8SequenceIJLi8ELi32ELi1EEEENSD_IJLi1ELi0ELi2EEEESF_Li2ELi16ELi16ELb0ELi0ENSD_IJLi4ELi64ELi1EEEESF_SF_Li2ELi16ELi16ELb0ELi0ELi1ELi1ENSD_IJLi1ELi32ELi1ELi8EEEELi4ELNS_26BlockGemmPipelineSchedulerE1ELNS_24BlockGemmPipelineVersionE1ES6_S6_Lb0ELb1ELb0ELi0ELb0EEELb1ELNS_25InMemoryDataOperationEnumE0ELi2ELNS_10TailNumberE2EEEvNT_8ArgumentE,"axG",@progbits,_ZN2ck27kernel_gemm_xdl_cshuffle_v3INS_28GridwiseGemm_xdl_cshuffle_v3INS_13tensor_layout4gemm8RowMajorENS3_11ColumnMajorES4_NS_9f8_fnuz_tENS_7pk_i4_tEfDF16_DF16_NS_16tensor_operation12element_wise11PassThroughESA_SA_LNS8_6device18GemmSpecializationE0ELi256ELi128ELi128ELi128ELi16ELi16ELi16ELi16ELi4ELi2ENS_8SequenceIJLi8ELi32ELi1EEEENSD_IJLi1ELi0ELi2EEEESF_Li2ELi16ELi16ELb0ELi0ENSD_IJLi4ELi64ELi1EEEESF_SF_Li2ELi16ELi16ELb0ELi0ELi1ELi1ENSD_IJLi1ELi32ELi1ELi8EEEELi4ELNS_26BlockGemmPipelineSchedulerE1ELNS_24BlockGemmPipelineVersionE1ES6_S6_Lb0ELb1ELb0ELi0ELb0EEELb1ELNS_25InMemoryDataOperationEnumE0ELi2ELNS_10TailNumberE2EEEvNT_8ArgumentE,comdat
.Lfunc_end7:
	.size	_ZN2ck27kernel_gemm_xdl_cshuffle_v3INS_28GridwiseGemm_xdl_cshuffle_v3INS_13tensor_layout4gemm8RowMajorENS3_11ColumnMajorES4_NS_9f8_fnuz_tENS_7pk_i4_tEfDF16_DF16_NS_16tensor_operation12element_wise11PassThroughESA_SA_LNS8_6device18GemmSpecializationE0ELi256ELi128ELi128ELi128ELi16ELi16ELi16ELi16ELi4ELi2ENS_8SequenceIJLi8ELi32ELi1EEEENSD_IJLi1ELi0ELi2EEEESF_Li2ELi16ELi16ELb0ELi0ENSD_IJLi4ELi64ELi1EEEESF_SF_Li2ELi16ELi16ELb0ELi0ELi1ELi1ENSD_IJLi1ELi32ELi1ELi8EEEELi4ELNS_26BlockGemmPipelineSchedulerE1ELNS_24BlockGemmPipelineVersionE1ES6_S6_Lb0ELb1ELb0ELi0ELb0EEELb1ELNS_25InMemoryDataOperationEnumE0ELi2ELNS_10TailNumberE2EEEvNT_8ArgumentE, .Lfunc_end7-_ZN2ck27kernel_gemm_xdl_cshuffle_v3INS_28GridwiseGemm_xdl_cshuffle_v3INS_13tensor_layout4gemm8RowMajorENS3_11ColumnMajorES4_NS_9f8_fnuz_tENS_7pk_i4_tEfDF16_DF16_NS_16tensor_operation12element_wise11PassThroughESA_SA_LNS8_6device18GemmSpecializationE0ELi256ELi128ELi128ELi128ELi16ELi16ELi16ELi16ELi4ELi2ENS_8SequenceIJLi8ELi32ELi1EEEENSD_IJLi1ELi0ELi2EEEESF_Li2ELi16ELi16ELb0ELi0ENSD_IJLi4ELi64ELi1EEEESF_SF_Li2ELi16ELi16ELb0ELi0ELi1ELi1ENSD_IJLi1ELi32ELi1ELi8EEEELi4ELNS_26BlockGemmPipelineSchedulerE1ELNS_24BlockGemmPipelineVersionE1ES6_S6_Lb0ELb1ELb0ELi0ELb0EEELb1ELNS_25InMemoryDataOperationEnumE0ELi2ELNS_10TailNumberE2EEEvNT_8ArgumentE
                                        ; -- End function
	.set _ZN2ck27kernel_gemm_xdl_cshuffle_v3INS_28GridwiseGemm_xdl_cshuffle_v3INS_13tensor_layout4gemm8RowMajorENS3_11ColumnMajorES4_NS_9f8_fnuz_tENS_7pk_i4_tEfDF16_DF16_NS_16tensor_operation12element_wise11PassThroughESA_SA_LNS8_6device18GemmSpecializationE0ELi256ELi128ELi128ELi128ELi16ELi16ELi16ELi16ELi4ELi2ENS_8SequenceIJLi8ELi32ELi1EEEENSD_IJLi1ELi0ELi2EEEESF_Li2ELi16ELi16ELb0ELi0ENSD_IJLi4ELi64ELi1EEEESF_SF_Li2ELi16ELi16ELb0ELi0ELi1ELi1ENSD_IJLi1ELi32ELi1ELi8EEEELi4ELNS_26BlockGemmPipelineSchedulerE1ELNS_24BlockGemmPipelineVersionE1ES6_S6_Lb0ELb1ELb0ELi0ELb0EEELb1ELNS_25InMemoryDataOperationEnumE0ELi2ELNS_10TailNumberE2EEEvNT_8ArgumentE.num_vgpr, 0
	.set _ZN2ck27kernel_gemm_xdl_cshuffle_v3INS_28GridwiseGemm_xdl_cshuffle_v3INS_13tensor_layout4gemm8RowMajorENS3_11ColumnMajorES4_NS_9f8_fnuz_tENS_7pk_i4_tEfDF16_DF16_NS_16tensor_operation12element_wise11PassThroughESA_SA_LNS8_6device18GemmSpecializationE0ELi256ELi128ELi128ELi128ELi16ELi16ELi16ELi16ELi4ELi2ENS_8SequenceIJLi8ELi32ELi1EEEENSD_IJLi1ELi0ELi2EEEESF_Li2ELi16ELi16ELb0ELi0ENSD_IJLi4ELi64ELi1EEEESF_SF_Li2ELi16ELi16ELb0ELi0ELi1ELi1ENSD_IJLi1ELi32ELi1ELi8EEEELi4ELNS_26BlockGemmPipelineSchedulerE1ELNS_24BlockGemmPipelineVersionE1ES6_S6_Lb0ELb1ELb0ELi0ELb0EEELb1ELNS_25InMemoryDataOperationEnumE0ELi2ELNS_10TailNumberE2EEEvNT_8ArgumentE.num_agpr, 0
	.set _ZN2ck27kernel_gemm_xdl_cshuffle_v3INS_28GridwiseGemm_xdl_cshuffle_v3INS_13tensor_layout4gemm8RowMajorENS3_11ColumnMajorES4_NS_9f8_fnuz_tENS_7pk_i4_tEfDF16_DF16_NS_16tensor_operation12element_wise11PassThroughESA_SA_LNS8_6device18GemmSpecializationE0ELi256ELi128ELi128ELi128ELi16ELi16ELi16ELi16ELi4ELi2ENS_8SequenceIJLi8ELi32ELi1EEEENSD_IJLi1ELi0ELi2EEEESF_Li2ELi16ELi16ELb0ELi0ENSD_IJLi4ELi64ELi1EEEESF_SF_Li2ELi16ELi16ELb0ELi0ELi1ELi1ENSD_IJLi1ELi32ELi1ELi8EEEELi4ELNS_26BlockGemmPipelineSchedulerE1ELNS_24BlockGemmPipelineVersionE1ES6_S6_Lb0ELb1ELb0ELi0ELb0EEELb1ELNS_25InMemoryDataOperationEnumE0ELi2ELNS_10TailNumberE2EEEvNT_8ArgumentE.numbered_sgpr, 0
	.set _ZN2ck27kernel_gemm_xdl_cshuffle_v3INS_28GridwiseGemm_xdl_cshuffle_v3INS_13tensor_layout4gemm8RowMajorENS3_11ColumnMajorES4_NS_9f8_fnuz_tENS_7pk_i4_tEfDF16_DF16_NS_16tensor_operation12element_wise11PassThroughESA_SA_LNS8_6device18GemmSpecializationE0ELi256ELi128ELi128ELi128ELi16ELi16ELi16ELi16ELi4ELi2ENS_8SequenceIJLi8ELi32ELi1EEEENSD_IJLi1ELi0ELi2EEEESF_Li2ELi16ELi16ELb0ELi0ENSD_IJLi4ELi64ELi1EEEESF_SF_Li2ELi16ELi16ELb0ELi0ELi1ELi1ENSD_IJLi1ELi32ELi1ELi8EEEELi4ELNS_26BlockGemmPipelineSchedulerE1ELNS_24BlockGemmPipelineVersionE1ES6_S6_Lb0ELb1ELb0ELi0ELb0EEELb1ELNS_25InMemoryDataOperationEnumE0ELi2ELNS_10TailNumberE2EEEvNT_8ArgumentE.num_named_barrier, 0
	.set _ZN2ck27kernel_gemm_xdl_cshuffle_v3INS_28GridwiseGemm_xdl_cshuffle_v3INS_13tensor_layout4gemm8RowMajorENS3_11ColumnMajorES4_NS_9f8_fnuz_tENS_7pk_i4_tEfDF16_DF16_NS_16tensor_operation12element_wise11PassThroughESA_SA_LNS8_6device18GemmSpecializationE0ELi256ELi128ELi128ELi128ELi16ELi16ELi16ELi16ELi4ELi2ENS_8SequenceIJLi8ELi32ELi1EEEENSD_IJLi1ELi0ELi2EEEESF_Li2ELi16ELi16ELb0ELi0ENSD_IJLi4ELi64ELi1EEEESF_SF_Li2ELi16ELi16ELb0ELi0ELi1ELi1ENSD_IJLi1ELi32ELi1ELi8EEEELi4ELNS_26BlockGemmPipelineSchedulerE1ELNS_24BlockGemmPipelineVersionE1ES6_S6_Lb0ELb1ELb0ELi0ELb0EEELb1ELNS_25InMemoryDataOperationEnumE0ELi2ELNS_10TailNumberE2EEEvNT_8ArgumentE.private_seg_size, 0
	.set _ZN2ck27kernel_gemm_xdl_cshuffle_v3INS_28GridwiseGemm_xdl_cshuffle_v3INS_13tensor_layout4gemm8RowMajorENS3_11ColumnMajorES4_NS_9f8_fnuz_tENS_7pk_i4_tEfDF16_DF16_NS_16tensor_operation12element_wise11PassThroughESA_SA_LNS8_6device18GemmSpecializationE0ELi256ELi128ELi128ELi128ELi16ELi16ELi16ELi16ELi4ELi2ENS_8SequenceIJLi8ELi32ELi1EEEENSD_IJLi1ELi0ELi2EEEESF_Li2ELi16ELi16ELb0ELi0ENSD_IJLi4ELi64ELi1EEEESF_SF_Li2ELi16ELi16ELb0ELi0ELi1ELi1ENSD_IJLi1ELi32ELi1ELi8EEEELi4ELNS_26BlockGemmPipelineSchedulerE1ELNS_24BlockGemmPipelineVersionE1ES6_S6_Lb0ELb1ELb0ELi0ELb0EEELb1ELNS_25InMemoryDataOperationEnumE0ELi2ELNS_10TailNumberE2EEEvNT_8ArgumentE.uses_vcc, 0
	.set _ZN2ck27kernel_gemm_xdl_cshuffle_v3INS_28GridwiseGemm_xdl_cshuffle_v3INS_13tensor_layout4gemm8RowMajorENS3_11ColumnMajorES4_NS_9f8_fnuz_tENS_7pk_i4_tEfDF16_DF16_NS_16tensor_operation12element_wise11PassThroughESA_SA_LNS8_6device18GemmSpecializationE0ELi256ELi128ELi128ELi128ELi16ELi16ELi16ELi16ELi4ELi2ENS_8SequenceIJLi8ELi32ELi1EEEENSD_IJLi1ELi0ELi2EEEESF_Li2ELi16ELi16ELb0ELi0ENSD_IJLi4ELi64ELi1EEEESF_SF_Li2ELi16ELi16ELb0ELi0ELi1ELi1ENSD_IJLi1ELi32ELi1ELi8EEEELi4ELNS_26BlockGemmPipelineSchedulerE1ELNS_24BlockGemmPipelineVersionE1ES6_S6_Lb0ELb1ELb0ELi0ELb0EEELb1ELNS_25InMemoryDataOperationEnumE0ELi2ELNS_10TailNumberE2EEEvNT_8ArgumentE.uses_flat_scratch, 0
	.set _ZN2ck27kernel_gemm_xdl_cshuffle_v3INS_28GridwiseGemm_xdl_cshuffle_v3INS_13tensor_layout4gemm8RowMajorENS3_11ColumnMajorES4_NS_9f8_fnuz_tENS_7pk_i4_tEfDF16_DF16_NS_16tensor_operation12element_wise11PassThroughESA_SA_LNS8_6device18GemmSpecializationE0ELi256ELi128ELi128ELi128ELi16ELi16ELi16ELi16ELi4ELi2ENS_8SequenceIJLi8ELi32ELi1EEEENSD_IJLi1ELi0ELi2EEEESF_Li2ELi16ELi16ELb0ELi0ENSD_IJLi4ELi64ELi1EEEESF_SF_Li2ELi16ELi16ELb0ELi0ELi1ELi1ENSD_IJLi1ELi32ELi1ELi8EEEELi4ELNS_26BlockGemmPipelineSchedulerE1ELNS_24BlockGemmPipelineVersionE1ES6_S6_Lb0ELb1ELb0ELi0ELb0EEELb1ELNS_25InMemoryDataOperationEnumE0ELi2ELNS_10TailNumberE2EEEvNT_8ArgumentE.has_dyn_sized_stack, 0
	.set _ZN2ck27kernel_gemm_xdl_cshuffle_v3INS_28GridwiseGemm_xdl_cshuffle_v3INS_13tensor_layout4gemm8RowMajorENS3_11ColumnMajorES4_NS_9f8_fnuz_tENS_7pk_i4_tEfDF16_DF16_NS_16tensor_operation12element_wise11PassThroughESA_SA_LNS8_6device18GemmSpecializationE0ELi256ELi128ELi128ELi128ELi16ELi16ELi16ELi16ELi4ELi2ENS_8SequenceIJLi8ELi32ELi1EEEENSD_IJLi1ELi0ELi2EEEESF_Li2ELi16ELi16ELb0ELi0ENSD_IJLi4ELi64ELi1EEEESF_SF_Li2ELi16ELi16ELb0ELi0ELi1ELi1ENSD_IJLi1ELi32ELi1ELi8EEEELi4ELNS_26BlockGemmPipelineSchedulerE1ELNS_24BlockGemmPipelineVersionE1ES6_S6_Lb0ELb1ELb0ELi0ELb0EEELb1ELNS_25InMemoryDataOperationEnumE0ELi2ELNS_10TailNumberE2EEEvNT_8ArgumentE.has_recursion, 0
	.set _ZN2ck27kernel_gemm_xdl_cshuffle_v3INS_28GridwiseGemm_xdl_cshuffle_v3INS_13tensor_layout4gemm8RowMajorENS3_11ColumnMajorES4_NS_9f8_fnuz_tENS_7pk_i4_tEfDF16_DF16_NS_16tensor_operation12element_wise11PassThroughESA_SA_LNS8_6device18GemmSpecializationE0ELi256ELi128ELi128ELi128ELi16ELi16ELi16ELi16ELi4ELi2ENS_8SequenceIJLi8ELi32ELi1EEEENSD_IJLi1ELi0ELi2EEEESF_Li2ELi16ELi16ELb0ELi0ENSD_IJLi4ELi64ELi1EEEESF_SF_Li2ELi16ELi16ELb0ELi0ELi1ELi1ENSD_IJLi1ELi32ELi1ELi8EEEELi4ELNS_26BlockGemmPipelineSchedulerE1ELNS_24BlockGemmPipelineVersionE1ES6_S6_Lb0ELb1ELb0ELi0ELb0EEELb1ELNS_25InMemoryDataOperationEnumE0ELi2ELNS_10TailNumberE2EEEvNT_8ArgumentE.has_indirect_call, 0
	.section	.AMDGPU.csdata,"",@progbits
; Kernel info:
; codeLenInByte = 4
; TotalNumSgprs: 6
; NumVgprs: 0
; NumAgprs: 0
; TotalNumVgprs: 0
; ScratchSize: 0
; MemoryBound: 0
; FloatMode: 240
; IeeeMode: 1
; LDSByteSize: 0 bytes/workgroup (compile time only)
; SGPRBlocks: 0
; VGPRBlocks: 0
; NumSGPRsForWavesPerEU: 6
; NumVGPRsForWavesPerEU: 1
; AccumOffset: 4
; Occupancy: 8
; WaveLimiterHint : 0
; COMPUTE_PGM_RSRC2:SCRATCH_EN: 0
; COMPUTE_PGM_RSRC2:USER_SGPR: 2
; COMPUTE_PGM_RSRC2:TRAP_HANDLER: 0
; COMPUTE_PGM_RSRC2:TGID_X_EN: 1
; COMPUTE_PGM_RSRC2:TGID_Y_EN: 0
; COMPUTE_PGM_RSRC2:TGID_Z_EN: 0
; COMPUTE_PGM_RSRC2:TIDIG_COMP_CNT: 0
; COMPUTE_PGM_RSRC3_GFX90A:ACCUM_OFFSET: 0
; COMPUTE_PGM_RSRC3_GFX90A:TG_SPLIT: 0
	.section	.text._ZN2ck27kernel_gemm_xdl_cshuffle_v3INS_28GridwiseGemm_xdl_cshuffle_v3INS_13tensor_layout4gemm8RowMajorENS3_11ColumnMajorES4_NS_9f8_fnuz_tENS_7pk_i4_tEfDF16_DF16_NS_16tensor_operation12element_wise11PassThroughESA_SA_LNS8_6device18GemmSpecializationE0ELi256ELi128ELi128ELi128ELi16ELi16ELi16ELi16ELi4ELi2ENS_8SequenceIJLi8ELi32ELi1EEEENSD_IJLi1ELi0ELi2EEEESF_Li2ELi16ELi16ELb0ELi0ENSD_IJLi4ELi64ELi1EEEESF_SF_Li2ELi16ELi16ELb0ELi0ELi1ELi1ENSD_IJLi1ELi32ELi1ELi8EEEELi4ELNS_26BlockGemmPipelineSchedulerE1ELNS_24BlockGemmPipelineVersionE1ES6_S6_Lb0ELb1ELb0ELi0ELb0EEELb1ELNS_25InMemoryDataOperationEnumE0ELi2ELNS_10TailNumberE10EEEvNT_8ArgumentE,"axG",@progbits,_ZN2ck27kernel_gemm_xdl_cshuffle_v3INS_28GridwiseGemm_xdl_cshuffle_v3INS_13tensor_layout4gemm8RowMajorENS3_11ColumnMajorES4_NS_9f8_fnuz_tENS_7pk_i4_tEfDF16_DF16_NS_16tensor_operation12element_wise11PassThroughESA_SA_LNS8_6device18GemmSpecializationE0ELi256ELi128ELi128ELi128ELi16ELi16ELi16ELi16ELi4ELi2ENS_8SequenceIJLi8ELi32ELi1EEEENSD_IJLi1ELi0ELi2EEEESF_Li2ELi16ELi16ELb0ELi0ENSD_IJLi4ELi64ELi1EEEESF_SF_Li2ELi16ELi16ELb0ELi0ELi1ELi1ENSD_IJLi1ELi32ELi1ELi8EEEELi4ELNS_26BlockGemmPipelineSchedulerE1ELNS_24BlockGemmPipelineVersionE1ES6_S6_Lb0ELb1ELb0ELi0ELb0EEELb1ELNS_25InMemoryDataOperationEnumE0ELi2ELNS_10TailNumberE10EEEvNT_8ArgumentE,comdat
	.protected	_ZN2ck27kernel_gemm_xdl_cshuffle_v3INS_28GridwiseGemm_xdl_cshuffle_v3INS_13tensor_layout4gemm8RowMajorENS3_11ColumnMajorES4_NS_9f8_fnuz_tENS_7pk_i4_tEfDF16_DF16_NS_16tensor_operation12element_wise11PassThroughESA_SA_LNS8_6device18GemmSpecializationE0ELi256ELi128ELi128ELi128ELi16ELi16ELi16ELi16ELi4ELi2ENS_8SequenceIJLi8ELi32ELi1EEEENSD_IJLi1ELi0ELi2EEEESF_Li2ELi16ELi16ELb0ELi0ENSD_IJLi4ELi64ELi1EEEESF_SF_Li2ELi16ELi16ELb0ELi0ELi1ELi1ENSD_IJLi1ELi32ELi1ELi8EEEELi4ELNS_26BlockGemmPipelineSchedulerE1ELNS_24BlockGemmPipelineVersionE1ES6_S6_Lb0ELb1ELb0ELi0ELb0EEELb1ELNS_25InMemoryDataOperationEnumE0ELi2ELNS_10TailNumberE10EEEvNT_8ArgumentE ; -- Begin function _ZN2ck27kernel_gemm_xdl_cshuffle_v3INS_28GridwiseGemm_xdl_cshuffle_v3INS_13tensor_layout4gemm8RowMajorENS3_11ColumnMajorES4_NS_9f8_fnuz_tENS_7pk_i4_tEfDF16_DF16_NS_16tensor_operation12element_wise11PassThroughESA_SA_LNS8_6device18GemmSpecializationE0ELi256ELi128ELi128ELi128ELi16ELi16ELi16ELi16ELi4ELi2ENS_8SequenceIJLi8ELi32ELi1EEEENSD_IJLi1ELi0ELi2EEEESF_Li2ELi16ELi16ELb0ELi0ENSD_IJLi4ELi64ELi1EEEESF_SF_Li2ELi16ELi16ELb0ELi0ELi1ELi1ENSD_IJLi1ELi32ELi1ELi8EEEELi4ELNS_26BlockGemmPipelineSchedulerE1ELNS_24BlockGemmPipelineVersionE1ES6_S6_Lb0ELb1ELb0ELi0ELb0EEELb1ELNS_25InMemoryDataOperationEnumE0ELi2ELNS_10TailNumberE10EEEvNT_8ArgumentE
	.globl	_ZN2ck27kernel_gemm_xdl_cshuffle_v3INS_28GridwiseGemm_xdl_cshuffle_v3INS_13tensor_layout4gemm8RowMajorENS3_11ColumnMajorES4_NS_9f8_fnuz_tENS_7pk_i4_tEfDF16_DF16_NS_16tensor_operation12element_wise11PassThroughESA_SA_LNS8_6device18GemmSpecializationE0ELi256ELi128ELi128ELi128ELi16ELi16ELi16ELi16ELi4ELi2ENS_8SequenceIJLi8ELi32ELi1EEEENSD_IJLi1ELi0ELi2EEEESF_Li2ELi16ELi16ELb0ELi0ENSD_IJLi4ELi64ELi1EEEESF_SF_Li2ELi16ELi16ELb0ELi0ELi1ELi1ENSD_IJLi1ELi32ELi1ELi8EEEELi4ELNS_26BlockGemmPipelineSchedulerE1ELNS_24BlockGemmPipelineVersionE1ES6_S6_Lb0ELb1ELb0ELi0ELb0EEELb1ELNS_25InMemoryDataOperationEnumE0ELi2ELNS_10TailNumberE10EEEvNT_8ArgumentE
	.p2align	8
	.type	_ZN2ck27kernel_gemm_xdl_cshuffle_v3INS_28GridwiseGemm_xdl_cshuffle_v3INS_13tensor_layout4gemm8RowMajorENS3_11ColumnMajorES4_NS_9f8_fnuz_tENS_7pk_i4_tEfDF16_DF16_NS_16tensor_operation12element_wise11PassThroughESA_SA_LNS8_6device18GemmSpecializationE0ELi256ELi128ELi128ELi128ELi16ELi16ELi16ELi16ELi4ELi2ENS_8SequenceIJLi8ELi32ELi1EEEENSD_IJLi1ELi0ELi2EEEESF_Li2ELi16ELi16ELb0ELi0ENSD_IJLi4ELi64ELi1EEEESF_SF_Li2ELi16ELi16ELb0ELi0ELi1ELi1ENSD_IJLi1ELi32ELi1ELi8EEEELi4ELNS_26BlockGemmPipelineSchedulerE1ELNS_24BlockGemmPipelineVersionE1ES6_S6_Lb0ELb1ELb0ELi0ELb0EEELb1ELNS_25InMemoryDataOperationEnumE0ELi2ELNS_10TailNumberE10EEEvNT_8ArgumentE,@function
_ZN2ck27kernel_gemm_xdl_cshuffle_v3INS_28GridwiseGemm_xdl_cshuffle_v3INS_13tensor_layout4gemm8RowMajorENS3_11ColumnMajorES4_NS_9f8_fnuz_tENS_7pk_i4_tEfDF16_DF16_NS_16tensor_operation12element_wise11PassThroughESA_SA_LNS8_6device18GemmSpecializationE0ELi256ELi128ELi128ELi128ELi16ELi16ELi16ELi16ELi4ELi2ENS_8SequenceIJLi8ELi32ELi1EEEENSD_IJLi1ELi0ELi2EEEESF_Li2ELi16ELi16ELb0ELi0ENSD_IJLi4ELi64ELi1EEEESF_SF_Li2ELi16ELi16ELb0ELi0ELi1ELi1ENSD_IJLi1ELi32ELi1ELi8EEEELi4ELNS_26BlockGemmPipelineSchedulerE1ELNS_24BlockGemmPipelineVersionE1ES6_S6_Lb0ELb1ELb0ELi0ELb0EEELb1ELNS_25InMemoryDataOperationEnumE0ELi2ELNS_10TailNumberE10EEEvNT_8ArgumentE: ; @_ZN2ck27kernel_gemm_xdl_cshuffle_v3INS_28GridwiseGemm_xdl_cshuffle_v3INS_13tensor_layout4gemm8RowMajorENS3_11ColumnMajorES4_NS_9f8_fnuz_tENS_7pk_i4_tEfDF16_DF16_NS_16tensor_operation12element_wise11PassThroughESA_SA_LNS8_6device18GemmSpecializationE0ELi256ELi128ELi128ELi128ELi16ELi16ELi16ELi16ELi4ELi2ENS_8SequenceIJLi8ELi32ELi1EEEENSD_IJLi1ELi0ELi2EEEESF_Li2ELi16ELi16ELb0ELi0ENSD_IJLi4ELi64ELi1EEEESF_SF_Li2ELi16ELi16ELb0ELi0ELi1ELi1ENSD_IJLi1ELi32ELi1ELi8EEEELi4ELNS_26BlockGemmPipelineSchedulerE1ELNS_24BlockGemmPipelineVersionE1ES6_S6_Lb0ELb1ELb0ELi0ELb0EEELb1ELNS_25InMemoryDataOperationEnumE0ELi2ELNS_10TailNumberE10EEEvNT_8ArgumentE
; %bb.0:
	s_endpgm
	.section	.rodata,"a",@progbits
	.p2align	6, 0x0
	.amdhsa_kernel _ZN2ck27kernel_gemm_xdl_cshuffle_v3INS_28GridwiseGemm_xdl_cshuffle_v3INS_13tensor_layout4gemm8RowMajorENS3_11ColumnMajorES4_NS_9f8_fnuz_tENS_7pk_i4_tEfDF16_DF16_NS_16tensor_operation12element_wise11PassThroughESA_SA_LNS8_6device18GemmSpecializationE0ELi256ELi128ELi128ELi128ELi16ELi16ELi16ELi16ELi4ELi2ENS_8SequenceIJLi8ELi32ELi1EEEENSD_IJLi1ELi0ELi2EEEESF_Li2ELi16ELi16ELb0ELi0ENSD_IJLi4ELi64ELi1EEEESF_SF_Li2ELi16ELi16ELb0ELi0ELi1ELi1ENSD_IJLi1ELi32ELi1ELi8EEEELi4ELNS_26BlockGemmPipelineSchedulerE1ELNS_24BlockGemmPipelineVersionE1ES6_S6_Lb0ELb1ELb0ELi0ELb0EEELb1ELNS_25InMemoryDataOperationEnumE0ELi2ELNS_10TailNumberE10EEEvNT_8ArgumentE
		.amdhsa_group_segment_fixed_size 0
		.amdhsa_private_segment_fixed_size 0
		.amdhsa_kernarg_size 112
		.amdhsa_user_sgpr_count 2
		.amdhsa_user_sgpr_dispatch_ptr 0
		.amdhsa_user_sgpr_queue_ptr 0
		.amdhsa_user_sgpr_kernarg_segment_ptr 1
		.amdhsa_user_sgpr_dispatch_id 0
		.amdhsa_user_sgpr_kernarg_preload_length 0
		.amdhsa_user_sgpr_kernarg_preload_offset 0
		.amdhsa_user_sgpr_private_segment_size 0
		.amdhsa_uses_dynamic_stack 0
		.amdhsa_enable_private_segment 0
		.amdhsa_system_sgpr_workgroup_id_x 1
		.amdhsa_system_sgpr_workgroup_id_y 0
		.amdhsa_system_sgpr_workgroup_id_z 0
		.amdhsa_system_sgpr_workgroup_info 0
		.amdhsa_system_vgpr_workitem_id 0
		.amdhsa_next_free_vgpr 1
		.amdhsa_next_free_sgpr 0
		.amdhsa_accum_offset 4
		.amdhsa_reserve_vcc 0
		.amdhsa_float_round_mode_32 0
		.amdhsa_float_round_mode_16_64 0
		.amdhsa_float_denorm_mode_32 3
		.amdhsa_float_denorm_mode_16_64 3
		.amdhsa_dx10_clamp 1
		.amdhsa_ieee_mode 1
		.amdhsa_fp16_overflow 0
		.amdhsa_tg_split 0
		.amdhsa_exception_fp_ieee_invalid_op 0
		.amdhsa_exception_fp_denorm_src 0
		.amdhsa_exception_fp_ieee_div_zero 0
		.amdhsa_exception_fp_ieee_overflow 0
		.amdhsa_exception_fp_ieee_underflow 0
		.amdhsa_exception_fp_ieee_inexact 0
		.amdhsa_exception_int_div_zero 0
	.end_amdhsa_kernel
	.section	.text._ZN2ck27kernel_gemm_xdl_cshuffle_v3INS_28GridwiseGemm_xdl_cshuffle_v3INS_13tensor_layout4gemm8RowMajorENS3_11ColumnMajorES4_NS_9f8_fnuz_tENS_7pk_i4_tEfDF16_DF16_NS_16tensor_operation12element_wise11PassThroughESA_SA_LNS8_6device18GemmSpecializationE0ELi256ELi128ELi128ELi128ELi16ELi16ELi16ELi16ELi4ELi2ENS_8SequenceIJLi8ELi32ELi1EEEENSD_IJLi1ELi0ELi2EEEESF_Li2ELi16ELi16ELb0ELi0ENSD_IJLi4ELi64ELi1EEEESF_SF_Li2ELi16ELi16ELb0ELi0ELi1ELi1ENSD_IJLi1ELi32ELi1ELi8EEEELi4ELNS_26BlockGemmPipelineSchedulerE1ELNS_24BlockGemmPipelineVersionE1ES6_S6_Lb0ELb1ELb0ELi0ELb0EEELb1ELNS_25InMemoryDataOperationEnumE0ELi2ELNS_10TailNumberE10EEEvNT_8ArgumentE,"axG",@progbits,_ZN2ck27kernel_gemm_xdl_cshuffle_v3INS_28GridwiseGemm_xdl_cshuffle_v3INS_13tensor_layout4gemm8RowMajorENS3_11ColumnMajorES4_NS_9f8_fnuz_tENS_7pk_i4_tEfDF16_DF16_NS_16tensor_operation12element_wise11PassThroughESA_SA_LNS8_6device18GemmSpecializationE0ELi256ELi128ELi128ELi128ELi16ELi16ELi16ELi16ELi4ELi2ENS_8SequenceIJLi8ELi32ELi1EEEENSD_IJLi1ELi0ELi2EEEESF_Li2ELi16ELi16ELb0ELi0ENSD_IJLi4ELi64ELi1EEEESF_SF_Li2ELi16ELi16ELb0ELi0ELi1ELi1ENSD_IJLi1ELi32ELi1ELi8EEEELi4ELNS_26BlockGemmPipelineSchedulerE1ELNS_24BlockGemmPipelineVersionE1ES6_S6_Lb0ELb1ELb0ELi0ELb0EEELb1ELNS_25InMemoryDataOperationEnumE0ELi2ELNS_10TailNumberE10EEEvNT_8ArgumentE,comdat
.Lfunc_end8:
	.size	_ZN2ck27kernel_gemm_xdl_cshuffle_v3INS_28GridwiseGemm_xdl_cshuffle_v3INS_13tensor_layout4gemm8RowMajorENS3_11ColumnMajorES4_NS_9f8_fnuz_tENS_7pk_i4_tEfDF16_DF16_NS_16tensor_operation12element_wise11PassThroughESA_SA_LNS8_6device18GemmSpecializationE0ELi256ELi128ELi128ELi128ELi16ELi16ELi16ELi16ELi4ELi2ENS_8SequenceIJLi8ELi32ELi1EEEENSD_IJLi1ELi0ELi2EEEESF_Li2ELi16ELi16ELb0ELi0ENSD_IJLi4ELi64ELi1EEEESF_SF_Li2ELi16ELi16ELb0ELi0ELi1ELi1ENSD_IJLi1ELi32ELi1ELi8EEEELi4ELNS_26BlockGemmPipelineSchedulerE1ELNS_24BlockGemmPipelineVersionE1ES6_S6_Lb0ELb1ELb0ELi0ELb0EEELb1ELNS_25InMemoryDataOperationEnumE0ELi2ELNS_10TailNumberE10EEEvNT_8ArgumentE, .Lfunc_end8-_ZN2ck27kernel_gemm_xdl_cshuffle_v3INS_28GridwiseGemm_xdl_cshuffle_v3INS_13tensor_layout4gemm8RowMajorENS3_11ColumnMajorES4_NS_9f8_fnuz_tENS_7pk_i4_tEfDF16_DF16_NS_16tensor_operation12element_wise11PassThroughESA_SA_LNS8_6device18GemmSpecializationE0ELi256ELi128ELi128ELi128ELi16ELi16ELi16ELi16ELi4ELi2ENS_8SequenceIJLi8ELi32ELi1EEEENSD_IJLi1ELi0ELi2EEEESF_Li2ELi16ELi16ELb0ELi0ENSD_IJLi4ELi64ELi1EEEESF_SF_Li2ELi16ELi16ELb0ELi0ELi1ELi1ENSD_IJLi1ELi32ELi1ELi8EEEELi4ELNS_26BlockGemmPipelineSchedulerE1ELNS_24BlockGemmPipelineVersionE1ES6_S6_Lb0ELb1ELb0ELi0ELb0EEELb1ELNS_25InMemoryDataOperationEnumE0ELi2ELNS_10TailNumberE10EEEvNT_8ArgumentE
                                        ; -- End function
	.set _ZN2ck27kernel_gemm_xdl_cshuffle_v3INS_28GridwiseGemm_xdl_cshuffle_v3INS_13tensor_layout4gemm8RowMajorENS3_11ColumnMajorES4_NS_9f8_fnuz_tENS_7pk_i4_tEfDF16_DF16_NS_16tensor_operation12element_wise11PassThroughESA_SA_LNS8_6device18GemmSpecializationE0ELi256ELi128ELi128ELi128ELi16ELi16ELi16ELi16ELi4ELi2ENS_8SequenceIJLi8ELi32ELi1EEEENSD_IJLi1ELi0ELi2EEEESF_Li2ELi16ELi16ELb0ELi0ENSD_IJLi4ELi64ELi1EEEESF_SF_Li2ELi16ELi16ELb0ELi0ELi1ELi1ENSD_IJLi1ELi32ELi1ELi8EEEELi4ELNS_26BlockGemmPipelineSchedulerE1ELNS_24BlockGemmPipelineVersionE1ES6_S6_Lb0ELb1ELb0ELi0ELb0EEELb1ELNS_25InMemoryDataOperationEnumE0ELi2ELNS_10TailNumberE10EEEvNT_8ArgumentE.num_vgpr, 0
	.set _ZN2ck27kernel_gemm_xdl_cshuffle_v3INS_28GridwiseGemm_xdl_cshuffle_v3INS_13tensor_layout4gemm8RowMajorENS3_11ColumnMajorES4_NS_9f8_fnuz_tENS_7pk_i4_tEfDF16_DF16_NS_16tensor_operation12element_wise11PassThroughESA_SA_LNS8_6device18GemmSpecializationE0ELi256ELi128ELi128ELi128ELi16ELi16ELi16ELi16ELi4ELi2ENS_8SequenceIJLi8ELi32ELi1EEEENSD_IJLi1ELi0ELi2EEEESF_Li2ELi16ELi16ELb0ELi0ENSD_IJLi4ELi64ELi1EEEESF_SF_Li2ELi16ELi16ELb0ELi0ELi1ELi1ENSD_IJLi1ELi32ELi1ELi8EEEELi4ELNS_26BlockGemmPipelineSchedulerE1ELNS_24BlockGemmPipelineVersionE1ES6_S6_Lb0ELb1ELb0ELi0ELb0EEELb1ELNS_25InMemoryDataOperationEnumE0ELi2ELNS_10TailNumberE10EEEvNT_8ArgumentE.num_agpr, 0
	.set _ZN2ck27kernel_gemm_xdl_cshuffle_v3INS_28GridwiseGemm_xdl_cshuffle_v3INS_13tensor_layout4gemm8RowMajorENS3_11ColumnMajorES4_NS_9f8_fnuz_tENS_7pk_i4_tEfDF16_DF16_NS_16tensor_operation12element_wise11PassThroughESA_SA_LNS8_6device18GemmSpecializationE0ELi256ELi128ELi128ELi128ELi16ELi16ELi16ELi16ELi4ELi2ENS_8SequenceIJLi8ELi32ELi1EEEENSD_IJLi1ELi0ELi2EEEESF_Li2ELi16ELi16ELb0ELi0ENSD_IJLi4ELi64ELi1EEEESF_SF_Li2ELi16ELi16ELb0ELi0ELi1ELi1ENSD_IJLi1ELi32ELi1ELi8EEEELi4ELNS_26BlockGemmPipelineSchedulerE1ELNS_24BlockGemmPipelineVersionE1ES6_S6_Lb0ELb1ELb0ELi0ELb0EEELb1ELNS_25InMemoryDataOperationEnumE0ELi2ELNS_10TailNumberE10EEEvNT_8ArgumentE.numbered_sgpr, 0
	.set _ZN2ck27kernel_gemm_xdl_cshuffle_v3INS_28GridwiseGemm_xdl_cshuffle_v3INS_13tensor_layout4gemm8RowMajorENS3_11ColumnMajorES4_NS_9f8_fnuz_tENS_7pk_i4_tEfDF16_DF16_NS_16tensor_operation12element_wise11PassThroughESA_SA_LNS8_6device18GemmSpecializationE0ELi256ELi128ELi128ELi128ELi16ELi16ELi16ELi16ELi4ELi2ENS_8SequenceIJLi8ELi32ELi1EEEENSD_IJLi1ELi0ELi2EEEESF_Li2ELi16ELi16ELb0ELi0ENSD_IJLi4ELi64ELi1EEEESF_SF_Li2ELi16ELi16ELb0ELi0ELi1ELi1ENSD_IJLi1ELi32ELi1ELi8EEEELi4ELNS_26BlockGemmPipelineSchedulerE1ELNS_24BlockGemmPipelineVersionE1ES6_S6_Lb0ELb1ELb0ELi0ELb0EEELb1ELNS_25InMemoryDataOperationEnumE0ELi2ELNS_10TailNumberE10EEEvNT_8ArgumentE.num_named_barrier, 0
	.set _ZN2ck27kernel_gemm_xdl_cshuffle_v3INS_28GridwiseGemm_xdl_cshuffle_v3INS_13tensor_layout4gemm8RowMajorENS3_11ColumnMajorES4_NS_9f8_fnuz_tENS_7pk_i4_tEfDF16_DF16_NS_16tensor_operation12element_wise11PassThroughESA_SA_LNS8_6device18GemmSpecializationE0ELi256ELi128ELi128ELi128ELi16ELi16ELi16ELi16ELi4ELi2ENS_8SequenceIJLi8ELi32ELi1EEEENSD_IJLi1ELi0ELi2EEEESF_Li2ELi16ELi16ELb0ELi0ENSD_IJLi4ELi64ELi1EEEESF_SF_Li2ELi16ELi16ELb0ELi0ELi1ELi1ENSD_IJLi1ELi32ELi1ELi8EEEELi4ELNS_26BlockGemmPipelineSchedulerE1ELNS_24BlockGemmPipelineVersionE1ES6_S6_Lb0ELb1ELb0ELi0ELb0EEELb1ELNS_25InMemoryDataOperationEnumE0ELi2ELNS_10TailNumberE10EEEvNT_8ArgumentE.private_seg_size, 0
	.set _ZN2ck27kernel_gemm_xdl_cshuffle_v3INS_28GridwiseGemm_xdl_cshuffle_v3INS_13tensor_layout4gemm8RowMajorENS3_11ColumnMajorES4_NS_9f8_fnuz_tENS_7pk_i4_tEfDF16_DF16_NS_16tensor_operation12element_wise11PassThroughESA_SA_LNS8_6device18GemmSpecializationE0ELi256ELi128ELi128ELi128ELi16ELi16ELi16ELi16ELi4ELi2ENS_8SequenceIJLi8ELi32ELi1EEEENSD_IJLi1ELi0ELi2EEEESF_Li2ELi16ELi16ELb0ELi0ENSD_IJLi4ELi64ELi1EEEESF_SF_Li2ELi16ELi16ELb0ELi0ELi1ELi1ENSD_IJLi1ELi32ELi1ELi8EEEELi4ELNS_26BlockGemmPipelineSchedulerE1ELNS_24BlockGemmPipelineVersionE1ES6_S6_Lb0ELb1ELb0ELi0ELb0EEELb1ELNS_25InMemoryDataOperationEnumE0ELi2ELNS_10TailNumberE10EEEvNT_8ArgumentE.uses_vcc, 0
	.set _ZN2ck27kernel_gemm_xdl_cshuffle_v3INS_28GridwiseGemm_xdl_cshuffle_v3INS_13tensor_layout4gemm8RowMajorENS3_11ColumnMajorES4_NS_9f8_fnuz_tENS_7pk_i4_tEfDF16_DF16_NS_16tensor_operation12element_wise11PassThroughESA_SA_LNS8_6device18GemmSpecializationE0ELi256ELi128ELi128ELi128ELi16ELi16ELi16ELi16ELi4ELi2ENS_8SequenceIJLi8ELi32ELi1EEEENSD_IJLi1ELi0ELi2EEEESF_Li2ELi16ELi16ELb0ELi0ENSD_IJLi4ELi64ELi1EEEESF_SF_Li2ELi16ELi16ELb0ELi0ELi1ELi1ENSD_IJLi1ELi32ELi1ELi8EEEELi4ELNS_26BlockGemmPipelineSchedulerE1ELNS_24BlockGemmPipelineVersionE1ES6_S6_Lb0ELb1ELb0ELi0ELb0EEELb1ELNS_25InMemoryDataOperationEnumE0ELi2ELNS_10TailNumberE10EEEvNT_8ArgumentE.uses_flat_scratch, 0
	.set _ZN2ck27kernel_gemm_xdl_cshuffle_v3INS_28GridwiseGemm_xdl_cshuffle_v3INS_13tensor_layout4gemm8RowMajorENS3_11ColumnMajorES4_NS_9f8_fnuz_tENS_7pk_i4_tEfDF16_DF16_NS_16tensor_operation12element_wise11PassThroughESA_SA_LNS8_6device18GemmSpecializationE0ELi256ELi128ELi128ELi128ELi16ELi16ELi16ELi16ELi4ELi2ENS_8SequenceIJLi8ELi32ELi1EEEENSD_IJLi1ELi0ELi2EEEESF_Li2ELi16ELi16ELb0ELi0ENSD_IJLi4ELi64ELi1EEEESF_SF_Li2ELi16ELi16ELb0ELi0ELi1ELi1ENSD_IJLi1ELi32ELi1ELi8EEEELi4ELNS_26BlockGemmPipelineSchedulerE1ELNS_24BlockGemmPipelineVersionE1ES6_S6_Lb0ELb1ELb0ELi0ELb0EEELb1ELNS_25InMemoryDataOperationEnumE0ELi2ELNS_10TailNumberE10EEEvNT_8ArgumentE.has_dyn_sized_stack, 0
	.set _ZN2ck27kernel_gemm_xdl_cshuffle_v3INS_28GridwiseGemm_xdl_cshuffle_v3INS_13tensor_layout4gemm8RowMajorENS3_11ColumnMajorES4_NS_9f8_fnuz_tENS_7pk_i4_tEfDF16_DF16_NS_16tensor_operation12element_wise11PassThroughESA_SA_LNS8_6device18GemmSpecializationE0ELi256ELi128ELi128ELi128ELi16ELi16ELi16ELi16ELi4ELi2ENS_8SequenceIJLi8ELi32ELi1EEEENSD_IJLi1ELi0ELi2EEEESF_Li2ELi16ELi16ELb0ELi0ENSD_IJLi4ELi64ELi1EEEESF_SF_Li2ELi16ELi16ELb0ELi0ELi1ELi1ENSD_IJLi1ELi32ELi1ELi8EEEELi4ELNS_26BlockGemmPipelineSchedulerE1ELNS_24BlockGemmPipelineVersionE1ES6_S6_Lb0ELb1ELb0ELi0ELb0EEELb1ELNS_25InMemoryDataOperationEnumE0ELi2ELNS_10TailNumberE10EEEvNT_8ArgumentE.has_recursion, 0
	.set _ZN2ck27kernel_gemm_xdl_cshuffle_v3INS_28GridwiseGemm_xdl_cshuffle_v3INS_13tensor_layout4gemm8RowMajorENS3_11ColumnMajorES4_NS_9f8_fnuz_tENS_7pk_i4_tEfDF16_DF16_NS_16tensor_operation12element_wise11PassThroughESA_SA_LNS8_6device18GemmSpecializationE0ELi256ELi128ELi128ELi128ELi16ELi16ELi16ELi16ELi4ELi2ENS_8SequenceIJLi8ELi32ELi1EEEENSD_IJLi1ELi0ELi2EEEESF_Li2ELi16ELi16ELb0ELi0ENSD_IJLi4ELi64ELi1EEEESF_SF_Li2ELi16ELi16ELb0ELi0ELi1ELi1ENSD_IJLi1ELi32ELi1ELi8EEEELi4ELNS_26BlockGemmPipelineSchedulerE1ELNS_24BlockGemmPipelineVersionE1ES6_S6_Lb0ELb1ELb0ELi0ELb0EEELb1ELNS_25InMemoryDataOperationEnumE0ELi2ELNS_10TailNumberE10EEEvNT_8ArgumentE.has_indirect_call, 0
	.section	.AMDGPU.csdata,"",@progbits
; Kernel info:
; codeLenInByte = 4
; TotalNumSgprs: 6
; NumVgprs: 0
; NumAgprs: 0
; TotalNumVgprs: 0
; ScratchSize: 0
; MemoryBound: 0
; FloatMode: 240
; IeeeMode: 1
; LDSByteSize: 0 bytes/workgroup (compile time only)
; SGPRBlocks: 0
; VGPRBlocks: 0
; NumSGPRsForWavesPerEU: 6
; NumVGPRsForWavesPerEU: 1
; AccumOffset: 4
; Occupancy: 8
; WaveLimiterHint : 0
; COMPUTE_PGM_RSRC2:SCRATCH_EN: 0
; COMPUTE_PGM_RSRC2:USER_SGPR: 2
; COMPUTE_PGM_RSRC2:TRAP_HANDLER: 0
; COMPUTE_PGM_RSRC2:TGID_X_EN: 1
; COMPUTE_PGM_RSRC2:TGID_Y_EN: 0
; COMPUTE_PGM_RSRC2:TGID_Z_EN: 0
; COMPUTE_PGM_RSRC2:TIDIG_COMP_CNT: 0
; COMPUTE_PGM_RSRC3_GFX90A:ACCUM_OFFSET: 0
; COMPUTE_PGM_RSRC3_GFX90A:TG_SPLIT: 0
	.section	.AMDGPU.gpr_maximums,"",@progbits
	.set amdgpu.max_num_vgpr, 0
	.set amdgpu.max_num_agpr, 0
	.set amdgpu.max_num_sgpr, 0
	.section	.AMDGPU.csdata,"",@progbits
	.type	__hip_cuid_69580d4bdefbfe70,@object ; @__hip_cuid_69580d4bdefbfe70
	.section	.bss,"aw",@nobits
	.globl	__hip_cuid_69580d4bdefbfe70
__hip_cuid_69580d4bdefbfe70:
	.byte	0                               ; 0x0
	.size	__hip_cuid_69580d4bdefbfe70, 1

	.ident	"AMD clang version 22.0.0git (https://github.com/RadeonOpenCompute/llvm-project roc-7.2.4 26084 f58b06dce1f9c15707c5f808fd002e18c2accf7e)"
	.section	".note.GNU-stack","",@progbits
	.addrsig
	.addrsig_sym __hip_cuid_69580d4bdefbfe70
	.amdgpu_metadata
---
amdhsa.kernels:
  - .agpr_count:     0
    .args:           []
    .group_segment_fixed_size: 0
    .kernarg_segment_align: 4
    .kernarg_segment_size: 0
    .language:       OpenCL C
    .language_version:
      - 2
      - 0
    .max_flat_workgroup_size: 1024
    .name:           _ZN2ckL12flush_icacheEv
    .private_segment_fixed_size: 0
    .sgpr_count:     6
    .sgpr_spill_count: 0
    .symbol:         _ZN2ckL12flush_icacheEv.kd
    .uniform_work_group_size: 1
    .uses_dynamic_stack: false
    .vgpr_count:     0
    .vgpr_spill_count: 0
    .wavefront_size: 64
  - .agpr_count:     0
    .args:
      - .offset:         0
        .size:           112
        .value_kind:     by_value
    .group_segment_fixed_size: 24576
    .kernarg_segment_align: 8
    .kernarg_segment_size: 112
    .language:       OpenCL C
    .language_version:
      - 2
      - 0
    .max_flat_workgroup_size: 256
    .name:           _ZN2ck27kernel_gemm_xdl_cshuffle_v3INS_28GridwiseGemm_xdl_cshuffle_v3INS_13tensor_layout4gemm8RowMajorENS3_11ColumnMajorES4_NS_9f8_fnuz_tENS_7pk_i4_tEfDF16_DF16_NS_16tensor_operation12element_wise11PassThroughESA_SA_LNS8_6device18GemmSpecializationE0ELi256ELi128ELi128ELi128ELi16ELi16ELi16ELi16ELi4ELi4ENS_8SequenceIJLi8ELi32ELi1EEEENSD_IJLi1ELi0ELi2EEEESF_Li2ELi16ELi16ELb0ELi0ENSD_IJLi4ELi64ELi1EEEESF_SF_Li2ELi16ELi16ELb0ELi0ELi1ELi1ENSD_IJLi1ELi32ELi1ELi8EEEELi4ELNS_26BlockGemmPipelineSchedulerE1ELNS_24BlockGemmPipelineVersionE1ES6_S6_Lb0ELb1ELb0ELi0ELb0EEELb1ELNS_25InMemoryDataOperationEnumE1ELi2ELNS_10TailNumberE2EEEvNT_8ArgumentE
    .private_segment_fixed_size: 0
    .sgpr_count:     36
    .sgpr_spill_count: 0
    .symbol:         _ZN2ck27kernel_gemm_xdl_cshuffle_v3INS_28GridwiseGemm_xdl_cshuffle_v3INS_13tensor_layout4gemm8RowMajorENS3_11ColumnMajorES4_NS_9f8_fnuz_tENS_7pk_i4_tEfDF16_DF16_NS_16tensor_operation12element_wise11PassThroughESA_SA_LNS8_6device18GemmSpecializationE0ELi256ELi128ELi128ELi128ELi16ELi16ELi16ELi16ELi4ELi4ENS_8SequenceIJLi8ELi32ELi1EEEENSD_IJLi1ELi0ELi2EEEESF_Li2ELi16ELi16ELb0ELi0ENSD_IJLi4ELi64ELi1EEEESF_SF_Li2ELi16ELi16ELb0ELi0ELi1ELi1ENSD_IJLi1ELi32ELi1ELi8EEEELi4ELNS_26BlockGemmPipelineSchedulerE1ELNS_24BlockGemmPipelineVersionE1ES6_S6_Lb0ELb1ELb0ELi0ELb0EEELb1ELNS_25InMemoryDataOperationEnumE1ELi2ELNS_10TailNumberE2EEEvNT_8ArgumentE.kd
    .uniform_work_group_size: 1
    .uses_dynamic_stack: false
    .vgpr_count:     200
    .vgpr_spill_count: 0
    .wavefront_size: 64
  - .agpr_count:     0
    .args:
      - .offset:         0
        .size:           112
        .value_kind:     by_value
    .group_segment_fixed_size: 24576
    .kernarg_segment_align: 8
    .kernarg_segment_size: 112
    .language:       OpenCL C
    .language_version:
      - 2
      - 0
    .max_flat_workgroup_size: 256
    .name:           _ZN2ck27kernel_gemm_xdl_cshuffle_v3INS_28GridwiseGemm_xdl_cshuffle_v3INS_13tensor_layout4gemm8RowMajorENS3_11ColumnMajorES4_NS_9f8_fnuz_tENS_7pk_i4_tEfDF16_DF16_NS_16tensor_operation12element_wise11PassThroughESA_SA_LNS8_6device18GemmSpecializationE0ELi256ELi128ELi128ELi128ELi16ELi16ELi16ELi16ELi4ELi4ENS_8SequenceIJLi8ELi32ELi1EEEENSD_IJLi1ELi0ELi2EEEESF_Li2ELi16ELi16ELb0ELi0ENSD_IJLi4ELi64ELi1EEEESF_SF_Li2ELi16ELi16ELb0ELi0ELi1ELi1ENSD_IJLi1ELi32ELi1ELi8EEEELi4ELNS_26BlockGemmPipelineSchedulerE1ELNS_24BlockGemmPipelineVersionE1ES6_S6_Lb0ELb1ELb0ELi0ELb0EEELb1ELNS_25InMemoryDataOperationEnumE1ELi2ELNS_10TailNumberE10EEEvNT_8ArgumentE
    .private_segment_fixed_size: 0
    .sgpr_count:     36
    .sgpr_spill_count: 0
    .symbol:         _ZN2ck27kernel_gemm_xdl_cshuffle_v3INS_28GridwiseGemm_xdl_cshuffle_v3INS_13tensor_layout4gemm8RowMajorENS3_11ColumnMajorES4_NS_9f8_fnuz_tENS_7pk_i4_tEfDF16_DF16_NS_16tensor_operation12element_wise11PassThroughESA_SA_LNS8_6device18GemmSpecializationE0ELi256ELi128ELi128ELi128ELi16ELi16ELi16ELi16ELi4ELi4ENS_8SequenceIJLi8ELi32ELi1EEEENSD_IJLi1ELi0ELi2EEEESF_Li2ELi16ELi16ELb0ELi0ENSD_IJLi4ELi64ELi1EEEESF_SF_Li2ELi16ELi16ELb0ELi0ELi1ELi1ENSD_IJLi1ELi32ELi1ELi8EEEELi4ELNS_26BlockGemmPipelineSchedulerE1ELNS_24BlockGemmPipelineVersionE1ES6_S6_Lb0ELb1ELb0ELi0ELb0EEELb1ELNS_25InMemoryDataOperationEnumE1ELi2ELNS_10TailNumberE10EEEvNT_8ArgumentE.kd
    .uniform_work_group_size: 1
    .uses_dynamic_stack: false
    .vgpr_count:     212
    .vgpr_spill_count: 0
    .wavefront_size: 64
  - .agpr_count:     0
    .args:
      - .offset:         0
        .size:           112
        .value_kind:     by_value
    .group_segment_fixed_size: 24576
    .kernarg_segment_align: 8
    .kernarg_segment_size: 112
    .language:       OpenCL C
    .language_version:
      - 2
      - 0
    .max_flat_workgroup_size: 256
    .name:           _ZN2ck27kernel_gemm_xdl_cshuffle_v3INS_28GridwiseGemm_xdl_cshuffle_v3INS_13tensor_layout4gemm8RowMajorENS3_11ColumnMajorES4_NS_9f8_fnuz_tENS_7pk_i4_tEfDF16_DF16_NS_16tensor_operation12element_wise11PassThroughESA_SA_LNS8_6device18GemmSpecializationE0ELi256ELi128ELi128ELi128ELi16ELi16ELi16ELi16ELi4ELi4ENS_8SequenceIJLi8ELi32ELi1EEEENSD_IJLi1ELi0ELi2EEEESF_Li2ELi16ELi16ELb0ELi0ENSD_IJLi4ELi64ELi1EEEESF_SF_Li2ELi16ELi16ELb0ELi0ELi1ELi1ENSD_IJLi1ELi32ELi1ELi8EEEELi4ELNS_26BlockGemmPipelineSchedulerE1ELNS_24BlockGemmPipelineVersionE1ES6_S6_Lb0ELb1ELb0ELi0ELb0EEELb1ELNS_25InMemoryDataOperationEnumE0ELi2ELNS_10TailNumberE2EEEvNT_8ArgumentE
    .private_segment_fixed_size: 0
    .sgpr_count:     36
    .sgpr_spill_count: 0
    .symbol:         _ZN2ck27kernel_gemm_xdl_cshuffle_v3INS_28GridwiseGemm_xdl_cshuffle_v3INS_13tensor_layout4gemm8RowMajorENS3_11ColumnMajorES4_NS_9f8_fnuz_tENS_7pk_i4_tEfDF16_DF16_NS_16tensor_operation12element_wise11PassThroughESA_SA_LNS8_6device18GemmSpecializationE0ELi256ELi128ELi128ELi128ELi16ELi16ELi16ELi16ELi4ELi4ENS_8SequenceIJLi8ELi32ELi1EEEENSD_IJLi1ELi0ELi2EEEESF_Li2ELi16ELi16ELb0ELi0ENSD_IJLi4ELi64ELi1EEEESF_SF_Li2ELi16ELi16ELb0ELi0ELi1ELi1ENSD_IJLi1ELi32ELi1ELi8EEEELi4ELNS_26BlockGemmPipelineSchedulerE1ELNS_24BlockGemmPipelineVersionE1ES6_S6_Lb0ELb1ELb0ELi0ELb0EEELb1ELNS_25InMemoryDataOperationEnumE0ELi2ELNS_10TailNumberE2EEEvNT_8ArgumentE.kd
    .uniform_work_group_size: 1
    .uses_dynamic_stack: false
    .vgpr_count:     200
    .vgpr_spill_count: 0
    .wavefront_size: 64
  - .agpr_count:     0
    .args:
      - .offset:         0
        .size:           112
        .value_kind:     by_value
    .group_segment_fixed_size: 24576
    .kernarg_segment_align: 8
    .kernarg_segment_size: 112
    .language:       OpenCL C
    .language_version:
      - 2
      - 0
    .max_flat_workgroup_size: 256
    .name:           _ZN2ck27kernel_gemm_xdl_cshuffle_v3INS_28GridwiseGemm_xdl_cshuffle_v3INS_13tensor_layout4gemm8RowMajorENS3_11ColumnMajorES4_NS_9f8_fnuz_tENS_7pk_i4_tEfDF16_DF16_NS_16tensor_operation12element_wise11PassThroughESA_SA_LNS8_6device18GemmSpecializationE0ELi256ELi128ELi128ELi128ELi16ELi16ELi16ELi16ELi4ELi4ENS_8SequenceIJLi8ELi32ELi1EEEENSD_IJLi1ELi0ELi2EEEESF_Li2ELi16ELi16ELb0ELi0ENSD_IJLi4ELi64ELi1EEEESF_SF_Li2ELi16ELi16ELb0ELi0ELi1ELi1ENSD_IJLi1ELi32ELi1ELi8EEEELi4ELNS_26BlockGemmPipelineSchedulerE1ELNS_24BlockGemmPipelineVersionE1ES6_S6_Lb0ELb1ELb0ELi0ELb0EEELb1ELNS_25InMemoryDataOperationEnumE0ELi2ELNS_10TailNumberE10EEEvNT_8ArgumentE
    .private_segment_fixed_size: 0
    .sgpr_count:     36
    .sgpr_spill_count: 0
    .symbol:         _ZN2ck27kernel_gemm_xdl_cshuffle_v3INS_28GridwiseGemm_xdl_cshuffle_v3INS_13tensor_layout4gemm8RowMajorENS3_11ColumnMajorES4_NS_9f8_fnuz_tENS_7pk_i4_tEfDF16_DF16_NS_16tensor_operation12element_wise11PassThroughESA_SA_LNS8_6device18GemmSpecializationE0ELi256ELi128ELi128ELi128ELi16ELi16ELi16ELi16ELi4ELi4ENS_8SequenceIJLi8ELi32ELi1EEEENSD_IJLi1ELi0ELi2EEEESF_Li2ELi16ELi16ELb0ELi0ENSD_IJLi4ELi64ELi1EEEESF_SF_Li2ELi16ELi16ELb0ELi0ELi1ELi1ENSD_IJLi1ELi32ELi1ELi8EEEELi4ELNS_26BlockGemmPipelineSchedulerE1ELNS_24BlockGemmPipelineVersionE1ES6_S6_Lb0ELb1ELb0ELi0ELb0EEELb1ELNS_25InMemoryDataOperationEnumE0ELi2ELNS_10TailNumberE10EEEvNT_8ArgumentE.kd
    .uniform_work_group_size: 1
    .uses_dynamic_stack: false
    .vgpr_count:     212
    .vgpr_spill_count: 0
    .wavefront_size: 64
  - .agpr_count:     0
    .args:
      - .offset:         0
        .size:           112
        .value_kind:     by_value
    .group_segment_fixed_size: 0
    .kernarg_segment_align: 8
    .kernarg_segment_size: 112
    .language:       OpenCL C
    .language_version:
      - 2
      - 0
    .max_flat_workgroup_size: 256
    .name:           _ZN2ck27kernel_gemm_xdl_cshuffle_v3INS_28GridwiseGemm_xdl_cshuffle_v3INS_13tensor_layout4gemm8RowMajorENS3_11ColumnMajorES4_NS_9f8_fnuz_tENS_7pk_i4_tEfDF16_DF16_NS_16tensor_operation12element_wise11PassThroughESA_SA_LNS8_6device18GemmSpecializationE0ELi256ELi128ELi128ELi128ELi16ELi16ELi16ELi16ELi4ELi2ENS_8SequenceIJLi8ELi32ELi1EEEENSD_IJLi1ELi0ELi2EEEESF_Li2ELi16ELi16ELb0ELi0ENSD_IJLi4ELi64ELi1EEEESF_SF_Li2ELi16ELi16ELb0ELi0ELi1ELi1ENSD_IJLi1ELi32ELi1ELi8EEEELi4ELNS_26BlockGemmPipelineSchedulerE1ELNS_24BlockGemmPipelineVersionE1ES6_S6_Lb0ELb1ELb0ELi0ELb0EEELb1ELNS_25InMemoryDataOperationEnumE1ELi2ELNS_10TailNumberE2EEEvNT_8ArgumentE
    .private_segment_fixed_size: 0
    .sgpr_count:     6
    .sgpr_spill_count: 0
    .symbol:         _ZN2ck27kernel_gemm_xdl_cshuffle_v3INS_28GridwiseGemm_xdl_cshuffle_v3INS_13tensor_layout4gemm8RowMajorENS3_11ColumnMajorES4_NS_9f8_fnuz_tENS_7pk_i4_tEfDF16_DF16_NS_16tensor_operation12element_wise11PassThroughESA_SA_LNS8_6device18GemmSpecializationE0ELi256ELi128ELi128ELi128ELi16ELi16ELi16ELi16ELi4ELi2ENS_8SequenceIJLi8ELi32ELi1EEEENSD_IJLi1ELi0ELi2EEEESF_Li2ELi16ELi16ELb0ELi0ENSD_IJLi4ELi64ELi1EEEESF_SF_Li2ELi16ELi16ELb0ELi0ELi1ELi1ENSD_IJLi1ELi32ELi1ELi8EEEELi4ELNS_26BlockGemmPipelineSchedulerE1ELNS_24BlockGemmPipelineVersionE1ES6_S6_Lb0ELb1ELb0ELi0ELb0EEELb1ELNS_25InMemoryDataOperationEnumE1ELi2ELNS_10TailNumberE2EEEvNT_8ArgumentE.kd
    .uniform_work_group_size: 1
    .uses_dynamic_stack: false
    .vgpr_count:     0
    .vgpr_spill_count: 0
    .wavefront_size: 64
  - .agpr_count:     0
    .args:
      - .offset:         0
        .size:           112
        .value_kind:     by_value
    .group_segment_fixed_size: 0
    .kernarg_segment_align: 8
    .kernarg_segment_size: 112
    .language:       OpenCL C
    .language_version:
      - 2
      - 0
    .max_flat_workgroup_size: 256
    .name:           _ZN2ck27kernel_gemm_xdl_cshuffle_v3INS_28GridwiseGemm_xdl_cshuffle_v3INS_13tensor_layout4gemm8RowMajorENS3_11ColumnMajorES4_NS_9f8_fnuz_tENS_7pk_i4_tEfDF16_DF16_NS_16tensor_operation12element_wise11PassThroughESA_SA_LNS8_6device18GemmSpecializationE0ELi256ELi128ELi128ELi128ELi16ELi16ELi16ELi16ELi4ELi2ENS_8SequenceIJLi8ELi32ELi1EEEENSD_IJLi1ELi0ELi2EEEESF_Li2ELi16ELi16ELb0ELi0ENSD_IJLi4ELi64ELi1EEEESF_SF_Li2ELi16ELi16ELb0ELi0ELi1ELi1ENSD_IJLi1ELi32ELi1ELi8EEEELi4ELNS_26BlockGemmPipelineSchedulerE1ELNS_24BlockGemmPipelineVersionE1ES6_S6_Lb0ELb1ELb0ELi0ELb0EEELb1ELNS_25InMemoryDataOperationEnumE1ELi2ELNS_10TailNumberE10EEEvNT_8ArgumentE
    .private_segment_fixed_size: 0
    .sgpr_count:     6
    .sgpr_spill_count: 0
    .symbol:         _ZN2ck27kernel_gemm_xdl_cshuffle_v3INS_28GridwiseGemm_xdl_cshuffle_v3INS_13tensor_layout4gemm8RowMajorENS3_11ColumnMajorES4_NS_9f8_fnuz_tENS_7pk_i4_tEfDF16_DF16_NS_16tensor_operation12element_wise11PassThroughESA_SA_LNS8_6device18GemmSpecializationE0ELi256ELi128ELi128ELi128ELi16ELi16ELi16ELi16ELi4ELi2ENS_8SequenceIJLi8ELi32ELi1EEEENSD_IJLi1ELi0ELi2EEEESF_Li2ELi16ELi16ELb0ELi0ENSD_IJLi4ELi64ELi1EEEESF_SF_Li2ELi16ELi16ELb0ELi0ELi1ELi1ENSD_IJLi1ELi32ELi1ELi8EEEELi4ELNS_26BlockGemmPipelineSchedulerE1ELNS_24BlockGemmPipelineVersionE1ES6_S6_Lb0ELb1ELb0ELi0ELb0EEELb1ELNS_25InMemoryDataOperationEnumE1ELi2ELNS_10TailNumberE10EEEvNT_8ArgumentE.kd
    .uniform_work_group_size: 1
    .uses_dynamic_stack: false
    .vgpr_count:     0
    .vgpr_spill_count: 0
    .wavefront_size: 64
  - .agpr_count:     0
    .args:
      - .offset:         0
        .size:           112
        .value_kind:     by_value
    .group_segment_fixed_size: 0
    .kernarg_segment_align: 8
    .kernarg_segment_size: 112
    .language:       OpenCL C
    .language_version:
      - 2
      - 0
    .max_flat_workgroup_size: 256
    .name:           _ZN2ck27kernel_gemm_xdl_cshuffle_v3INS_28GridwiseGemm_xdl_cshuffle_v3INS_13tensor_layout4gemm8RowMajorENS3_11ColumnMajorES4_NS_9f8_fnuz_tENS_7pk_i4_tEfDF16_DF16_NS_16tensor_operation12element_wise11PassThroughESA_SA_LNS8_6device18GemmSpecializationE0ELi256ELi128ELi128ELi128ELi16ELi16ELi16ELi16ELi4ELi2ENS_8SequenceIJLi8ELi32ELi1EEEENSD_IJLi1ELi0ELi2EEEESF_Li2ELi16ELi16ELb0ELi0ENSD_IJLi4ELi64ELi1EEEESF_SF_Li2ELi16ELi16ELb0ELi0ELi1ELi1ENSD_IJLi1ELi32ELi1ELi8EEEELi4ELNS_26BlockGemmPipelineSchedulerE1ELNS_24BlockGemmPipelineVersionE1ES6_S6_Lb0ELb1ELb0ELi0ELb0EEELb1ELNS_25InMemoryDataOperationEnumE0ELi2ELNS_10TailNumberE2EEEvNT_8ArgumentE
    .private_segment_fixed_size: 0
    .sgpr_count:     6
    .sgpr_spill_count: 0
    .symbol:         _ZN2ck27kernel_gemm_xdl_cshuffle_v3INS_28GridwiseGemm_xdl_cshuffle_v3INS_13tensor_layout4gemm8RowMajorENS3_11ColumnMajorES4_NS_9f8_fnuz_tENS_7pk_i4_tEfDF16_DF16_NS_16tensor_operation12element_wise11PassThroughESA_SA_LNS8_6device18GemmSpecializationE0ELi256ELi128ELi128ELi128ELi16ELi16ELi16ELi16ELi4ELi2ENS_8SequenceIJLi8ELi32ELi1EEEENSD_IJLi1ELi0ELi2EEEESF_Li2ELi16ELi16ELb0ELi0ENSD_IJLi4ELi64ELi1EEEESF_SF_Li2ELi16ELi16ELb0ELi0ELi1ELi1ENSD_IJLi1ELi32ELi1ELi8EEEELi4ELNS_26BlockGemmPipelineSchedulerE1ELNS_24BlockGemmPipelineVersionE1ES6_S6_Lb0ELb1ELb0ELi0ELb0EEELb1ELNS_25InMemoryDataOperationEnumE0ELi2ELNS_10TailNumberE2EEEvNT_8ArgumentE.kd
    .uniform_work_group_size: 1
    .uses_dynamic_stack: false
    .vgpr_count:     0
    .vgpr_spill_count: 0
    .wavefront_size: 64
  - .agpr_count:     0
    .args:
      - .offset:         0
        .size:           112
        .value_kind:     by_value
    .group_segment_fixed_size: 0
    .kernarg_segment_align: 8
    .kernarg_segment_size: 112
    .language:       OpenCL C
    .language_version:
      - 2
      - 0
    .max_flat_workgroup_size: 256
    .name:           _ZN2ck27kernel_gemm_xdl_cshuffle_v3INS_28GridwiseGemm_xdl_cshuffle_v3INS_13tensor_layout4gemm8RowMajorENS3_11ColumnMajorES4_NS_9f8_fnuz_tENS_7pk_i4_tEfDF16_DF16_NS_16tensor_operation12element_wise11PassThroughESA_SA_LNS8_6device18GemmSpecializationE0ELi256ELi128ELi128ELi128ELi16ELi16ELi16ELi16ELi4ELi2ENS_8SequenceIJLi8ELi32ELi1EEEENSD_IJLi1ELi0ELi2EEEESF_Li2ELi16ELi16ELb0ELi0ENSD_IJLi4ELi64ELi1EEEESF_SF_Li2ELi16ELi16ELb0ELi0ELi1ELi1ENSD_IJLi1ELi32ELi1ELi8EEEELi4ELNS_26BlockGemmPipelineSchedulerE1ELNS_24BlockGemmPipelineVersionE1ES6_S6_Lb0ELb1ELb0ELi0ELb0EEELb1ELNS_25InMemoryDataOperationEnumE0ELi2ELNS_10TailNumberE10EEEvNT_8ArgumentE
    .private_segment_fixed_size: 0
    .sgpr_count:     6
    .sgpr_spill_count: 0
    .symbol:         _ZN2ck27kernel_gemm_xdl_cshuffle_v3INS_28GridwiseGemm_xdl_cshuffle_v3INS_13tensor_layout4gemm8RowMajorENS3_11ColumnMajorES4_NS_9f8_fnuz_tENS_7pk_i4_tEfDF16_DF16_NS_16tensor_operation12element_wise11PassThroughESA_SA_LNS8_6device18GemmSpecializationE0ELi256ELi128ELi128ELi128ELi16ELi16ELi16ELi16ELi4ELi2ENS_8SequenceIJLi8ELi32ELi1EEEENSD_IJLi1ELi0ELi2EEEESF_Li2ELi16ELi16ELb0ELi0ENSD_IJLi4ELi64ELi1EEEESF_SF_Li2ELi16ELi16ELb0ELi0ELi1ELi1ENSD_IJLi1ELi32ELi1ELi8EEEELi4ELNS_26BlockGemmPipelineSchedulerE1ELNS_24BlockGemmPipelineVersionE1ES6_S6_Lb0ELb1ELb0ELi0ELb0EEELb1ELNS_25InMemoryDataOperationEnumE0ELi2ELNS_10TailNumberE10EEEvNT_8ArgumentE.kd
    .uniform_work_group_size: 1
    .uses_dynamic_stack: false
    .vgpr_count:     0
    .vgpr_spill_count: 0
    .wavefront_size: 64
amdhsa.target:   amdgcn-amd-amdhsa--gfx950
amdhsa.version:
  - 1
  - 2
...

	.end_amdgpu_metadata
